;; amdgpu-corpus repo=ROCm/rocFFT kind=compiled arch=gfx1030 opt=O3
	.text
	.amdgcn_target "amdgcn-amd-amdhsa--gfx1030"
	.amdhsa_code_object_version 6
	.protected	bluestein_single_back_len450_dim1_sp_op_CI_CI ; -- Begin function bluestein_single_back_len450_dim1_sp_op_CI_CI
	.globl	bluestein_single_back_len450_dim1_sp_op_CI_CI
	.p2align	8
	.type	bluestein_single_back_len450_dim1_sp_op_CI_CI,@function
bluestein_single_back_len450_dim1_sp_op_CI_CI: ; @bluestein_single_back_len450_dim1_sp_op_CI_CI
; %bb.0:
	s_load_dwordx4 s[12:15], s[4:5], 0x28
	v_mul_u32_u24_e32 v1, 0x889, v0
	v_mov_b32_e32 v121, 0
	s_mov_b32 s0, exec_lo
	v_lshrrev_b32_e32 v2, 16, v1
	v_lshl_add_u32 v120, s6, 2, v2
	s_waitcnt lgkmcnt(0)
	v_cmpx_gt_u64_e64 s[12:13], v[120:121]
	s_cbranch_execz .LBB0_15
; %bb.1:
	s_clause 0x1
	s_load_dwordx4 s[8:11], s[4:5], 0x18
	s_load_dwordx2 s[6:7], s[4:5], 0x0
	v_mul_lo_u16 v1, v2, 30
	v_sub_nc_u16 v27, v0, v1
	v_and_b32_e32 v134, 0xffff, v27
	v_lshlrev_b32_e32 v24, 3, v134
	s_waitcnt lgkmcnt(0)
	s_load_dwordx4 s[0:3], s[8:9], 0x0
	s_clause 0x5
	global_load_dwordx2 v[131:132], v24, s[6:7]
	global_load_dwordx2 v[129:130], v24, s[6:7] offset:360
	global_load_dwordx2 v[127:128], v24, s[6:7] offset:720
	;; [unrolled: 1-line block ×5, first 2 shown]
	s_waitcnt lgkmcnt(0)
	v_mad_u64_u32 v[0:1], null, s2, v120, 0
	v_mad_u64_u32 v[3:4], null, s0, v134, 0
	v_add_co_u32 v110, s2, s6, v24
	v_add_co_ci_u32_e64 v111, null, s7, 0, s2
	v_mad_u64_u32 v[5:6], null, s3, v120, v[1:2]
	v_add_co_u32 v108, vcc_lo, 0x800, v110
	v_add_co_ci_u32_e32 v109, vcc_lo, 0, v111, vcc_lo
	s_mul_i32 s3, s1, 45
	s_mul_hi_u32 s8, s0, 45
	v_mad_u64_u32 v[6:7], null, s1, v134, v[4:5]
	v_mov_b32_e32 v1, v5
	s_mul_i32 s2, s0, 45
	s_add_i32 s3, s8, s3
	s_clause 0x1
	global_load_dwordx2 v[116:117], v[108:109], off offset:112
	global_load_dwordx2 v[114:115], v[108:109], off offset:472
	s_lshl_b64 s[12:13], s[2:3], 3
	v_lshlrev_b64 v[0:1], 3, v[0:1]
	v_mov_b32_e32 v4, v6
	v_and_b32_e32 v2, 3, v2
	s_load_dwordx2 s[2:3], s[4:5], 0x38
	v_add_co_u32 v0, vcc_lo, s14, v0
	v_lshlrev_b64 v[3:4], 3, v[3:4]
	v_add_co_ci_u32_e32 v1, vcc_lo, s15, v1, vcc_lo
	v_mul_u32_u24_e32 v2, 0x1c2, v2
	v_add_co_u32 v0, vcc_lo, v0, v3
	v_add_co_ci_u32_e32 v1, vcc_lo, v1, v4, vcc_lo
	v_lshlrev_b32_e32 v135, 3, v2
	v_add_co_u32 v3, vcc_lo, v0, s12
	v_add_co_ci_u32_e32 v4, vcc_lo, s13, v1, vcc_lo
	global_load_dwordx2 v[7:8], v[0:1], off
	v_add_co_u32 v5, vcc_lo, v3, s12
	v_add_co_ci_u32_e32 v6, vcc_lo, s13, v4, vcc_lo
	global_load_dwordx2 v[3:4], v[3:4], off
	v_add_co_u32 v0, vcc_lo, v5, s12
	v_add_co_ci_u32_e32 v1, vcc_lo, s13, v6, vcc_lo
	s_clause 0x1
	global_load_dwordx2 v[5:6], v[5:6], off
	global_load_dwordx2 v[11:12], v[0:1], off
	v_add_co_u32 v9, vcc_lo, v0, s12
	v_add_co_ci_u32_e32 v10, vcc_lo, s13, v1, vcc_lo
	v_add_nc_u32_e32 v133, v135, v24
	v_add_co_u32 v0, vcc_lo, v9, s12
	v_add_co_ci_u32_e32 v1, vcc_lo, s13, v10, vcc_lo
	global_load_dwordx2 v[9:10], v[9:10], off
	v_add_co_u32 v13, vcc_lo, v0, s12
	v_add_co_ci_u32_e32 v14, vcc_lo, s13, v1, vcc_lo
	global_load_dwordx2 v[15:16], v[0:1], off
	;; [unrolled: 3-line block ×5, first 2 shown]
	s_clause 0x1
	global_load_dwordx2 v[121:122], v[108:109], off offset:832
	global_load_dwordx2 v[123:124], v[108:109], off offset:1192
	global_load_dwordx2 v[21:22], v[0:1], off
	s_load_dwordx4 s[8:11], s[10:11], 0x0
	v_cmp_gt_u16_e32 vcc_lo, 15, v27
	s_waitcnt vmcnt(11)
	v_mul_f32_e32 v23, v8, v132
	v_mul_f32_e32 v2, v7, v132
	s_waitcnt vmcnt(10)
	v_mul_f32_e32 v25, v4, v130
	v_mul_f32_e32 v26, v3, v130
	v_fmac_f32_e32 v23, v7, v131
	v_fma_f32 v24, v8, v131, -v2
	v_add_nc_u32_e32 v2, 0x800, v133
	v_fmac_f32_e32 v25, v3, v129
	v_fma_f32 v26, v4, v129, -v26
	s_waitcnt vmcnt(9)
	v_mul_f32_e32 v3, v6, v128
	v_mul_f32_e32 v4, v5, v128
	s_waitcnt vmcnt(8)
	v_mul_f32_e32 v8, v11, v126
	ds_write2_b64 v133, v[23:24], v[25:26] offset1:45
	v_fmac_f32_e32 v3, v5, v127
	v_mul_f32_e32 v5, v12, v126
	v_fma_f32 v4, v6, v127, -v4
	v_fma_f32 v6, v12, v125, -v8
	s_waitcnt vmcnt(7)
	v_mul_f32_e32 v7, v10, v119
	v_mul_f32_e32 v23, v9, v119
	v_fmac_f32_e32 v5, v11, v125
	v_fmac_f32_e32 v7, v9, v118
	s_waitcnt vmcnt(6)
	v_mul_f32_e32 v9, v16, v113
	v_fma_f32 v8, v10, v118, -v23
	v_mul_f32_e32 v10, v15, v113
	s_waitcnt vmcnt(5)
	v_mul_f32_e32 v12, v13, v117
	v_mul_f32_e32 v11, v14, v117
	v_fmac_f32_e32 v9, v15, v112
	v_fma_f32 v10, v16, v112, -v10
	s_waitcnt vmcnt(4)
	v_mul_f32_e32 v15, v20, v115
	v_fma_f32 v12, v14, v116, -v12
	v_mul_f32_e32 v14, v19, v115
	v_fmac_f32_e32 v11, v13, v116
	s_waitcnt vmcnt(2)
	v_mul_f32_e32 v13, v18, v122
	v_fmac_f32_e32 v15, v19, v114
	v_mul_f32_e32 v23, v17, v122
	s_waitcnt vmcnt(0)
	v_mul_f32_e32 v19, v22, v124
	v_mul_f32_e32 v24, v21, v124
	v_fma_f32 v16, v20, v114, -v14
	v_fmac_f32_e32 v13, v17, v121
	v_fma_f32 v14, v18, v121, -v23
	v_fmac_f32_e32 v19, v21, v123
	v_fma_f32 v20, v22, v123, -v24
	ds_write2_b64 v133, v[3:4], v[5:6] offset0:90 offset1:135
	ds_write2_b64 v133, v[7:8], v[9:10] offset0:180 offset1:225
	;; [unrolled: 1-line block ×4, first 2 shown]
	s_and_saveexec_b32 s14, vcc_lo
	s_cbranch_execz .LBB0_3
; %bb.2:
	v_mad_u64_u32 v[0:1], null, 0xfffff448, s0, v[0:1]
	s_mulk_i32 s1, 0xf448
	s_clause 0x3
	global_load_dwordx2 v[3:4], v[110:111], off offset:240
	global_load_dwordx2 v[5:6], v[110:111], off offset:600
	;; [unrolled: 1-line block ×4, first 2 shown]
	s_sub_i32 s0, s1, s0
	global_load_dwordx2 v[13:14], v[110:111], off offset:1680
	v_add_nc_u32_e32 v1, s0, v1
	v_add_co_u32 v11, s0, v0, s12
	v_add_co_ci_u32_e64 v12, s0, s13, v1, s0
	v_add_co_u32 v15, s0, v11, s12
	global_load_dwordx2 v[0:1], v[0:1], off
	v_add_co_ci_u32_e64 v16, s0, s13, v12, s0
	v_add_co_u32 v17, s0, v15, s12
	global_load_dwordx2 v[11:12], v[11:12], off
	;; [unrolled: 3-line block ×5, first 2 shown]
	v_add_co_ci_u32_e64 v24, s0, s13, v22, s0
	v_add_co_u32 v25, s0, v23, s12
	v_add_co_ci_u32_e64 v26, s0, s13, v24, s0
	s_clause 0x1
	global_load_dwordx2 v[27:28], v[110:111], off offset:2040
	global_load_dwordx2 v[29:30], v[108:109], off offset:352
	global_load_dwordx2 v[21:22], v[21:22], off
	global_load_dwordx2 v[23:24], v[23:24], off
	;; [unrolled: 1-line block ×3, first 2 shown]
	v_add_co_u32 v25, s0, v25, s12
	v_add_co_ci_u32_e64 v26, s0, s13, v26, s0
	global_load_dwordx2 v[33:34], v[108:109], off offset:712
	v_add_co_u32 v35, s0, v25, s12
	v_add_co_ci_u32_e64 v36, s0, s13, v26, s0
	global_load_dwordx2 v[25:26], v[25:26], off
	s_clause 0x1
	global_load_dwordx2 v[37:38], v[108:109], off offset:1072
	global_load_dwordx2 v[39:40], v[108:109], off offset:1432
	global_load_dwordx2 v[35:36], v[35:36], off
	s_waitcnt vmcnt(14)
	v_mul_f32_e32 v41, v1, v4
	v_mul_f32_e32 v42, v0, v4
	s_waitcnt vmcnt(13)
	v_mul_f32_e32 v4, v12, v6
	v_mul_f32_e32 v6, v11, v6
	v_fmac_f32_e32 v41, v0, v3
	v_fma_f32 v42, v1, v3, -v42
	s_waitcnt vmcnt(12)
	v_mul_f32_e32 v0, v16, v8
	v_mul_f32_e32 v1, v15, v8
	v_fmac_f32_e32 v4, v11, v5
	v_fma_f32 v5, v12, v5, -v6
	s_waitcnt vmcnt(11)
	v_mul_f32_e32 v3, v17, v10
	v_fmac_f32_e32 v0, v15, v7
	v_mul_f32_e32 v6, v18, v10
	v_fma_f32 v1, v16, v7, -v1
	s_waitcnt vmcnt(10)
	v_mul_f32_e32 v8, v20, v14
	v_mul_f32_e32 v11, v19, v14
	v_fma_f32 v7, v18, v9, -v3
	v_fmac_f32_e32 v6, v17, v9
	v_fmac_f32_e32 v8, v19, v13
	s_waitcnt vmcnt(7)
	v_mul_f32_e32 v3, v21, v28
	v_mul_f32_e32 v10, v22, v28
	v_fma_f32 v9, v20, v13, -v11
	s_waitcnt vmcnt(6)
	v_mul_f32_e32 v12, v24, v30
	v_mul_f32_e32 v13, v23, v30
	v_fma_f32 v11, v22, v27, -v3
	v_fmac_f32_e32 v10, v21, v27
	s_waitcnt vmcnt(4)
	v_mul_f32_e32 v14, v32, v34
	v_mul_f32_e32 v3, v31, v34
	v_fmac_f32_e32 v12, v23, v29
	s_waitcnt vmcnt(2)
	v_mul_f32_e32 v16, v26, v38
	v_mul_f32_e32 v17, v25, v38
	s_waitcnt vmcnt(0)
	v_mul_f32_e32 v18, v36, v40
	v_mul_f32_e32 v19, v35, v40
	v_fma_f32 v13, v24, v29, -v13
	v_fmac_f32_e32 v14, v31, v33
	v_fma_f32 v15, v32, v33, -v3
	v_fmac_f32_e32 v16, v25, v37
	v_fma_f32 v17, v26, v37, -v17
	v_fmac_f32_e32 v18, v35, v39
	v_fma_f32 v19, v36, v39, -v19
	ds_write2_b64 v133, v[41:42], v[4:5] offset0:30 offset1:75
	ds_write2_b64 v133, v[0:1], v[6:7] offset0:120 offset1:165
	;; [unrolled: 1-line block ×5, first 2 shown]
.LBB0_3:
	s_or_b32 exec_lo, exec_lo, s14
	s_waitcnt lgkmcnt(0)
	s_barrier
	buffer_gl0_inv
	ds_read2_b64 v[20:23], v133 offset1:45
	ds_read2_b64 v[32:35], v133 offset0:90 offset1:135
	ds_read2_b64 v[36:39], v133 offset0:180 offset1:225
	;; [unrolled: 1-line block ×4, first 2 shown]
	s_load_dwordx2 s[4:5], s[4:5], 0x8
                                        ; implicit-def: $vgpr0
                                        ; implicit-def: $vgpr12
                                        ; implicit-def: $vgpr16
                                        ; implicit-def: $vgpr8
                                        ; implicit-def: $vgpr4
	s_and_saveexec_b32 s0, vcc_lo
	s_cbranch_execz .LBB0_5
; %bb.4:
	v_add_nc_u32_e32 v4, 0x800, v133
	ds_read2_b64 v[0:3], v133 offset0:30 offset1:75
	ds_read2_b64 v[12:15], v133 offset0:120 offset1:165
	;; [unrolled: 1-line block ×5, first 2 shown]
.LBB0_5:
	s_or_b32 exec_lo, exec_lo, s0
	s_waitcnt lgkmcnt(0)
	v_add_f32_e32 v40, v36, v28
	v_add_f32_e32 v41, v20, v32
	v_sub_f32_e32 v42, v33, v25
	v_add_f32_e32 v45, v32, v24
	v_sub_f32_e32 v43, v37, v29
	v_fma_f32 v46, -0.5, v40, v20
	v_sub_f32_e32 v40, v32, v36
	v_sub_f32_e32 v44, v24, v28
	v_add_f32_e32 v41, v41, v36
	v_fma_f32 v20, -0.5, v45, v20
	v_fmamk_f32 v47, v42, 0x3f737871, v46
	v_fmac_f32_e32 v46, 0xbf737871, v42
	v_add_f32_e32 v50, v21, v33
	v_add_f32_e32 v40, v40, v44
	;; [unrolled: 1-line block ×3, first 2 shown]
	v_fmac_f32_e32 v47, 0x3f167918, v43
	v_fmamk_f32 v48, v43, 0xbf737871, v20
	v_fmac_f32_e32 v46, 0xbf167918, v43
	v_add_f32_e32 v51, v37, v29
	v_fmac_f32_e32 v20, 0x3f737871, v43
	v_add_f32_e32 v43, v50, v37
	v_add_f32_e32 v41, v41, v24
	v_fmac_f32_e32 v47, 0x3e9e377a, v40
	v_sub_f32_e32 v45, v36, v32
	v_sub_f32_e32 v49, v28, v24
	v_fma_f32 v52, -0.5, v51, v21
	v_sub_f32_e32 v24, v32, v24
	v_fmac_f32_e32 v46, 0x3e9e377a, v40
	v_add_f32_e32 v32, v43, v29
	v_add_f32_e32 v40, v33, v25
	v_fmac_f32_e32 v48, 0x3f167918, v42
	v_fmac_f32_e32 v20, 0xbf167918, v42
	v_fmamk_f32 v42, v24, 0xbf737871, v52
	v_sub_f32_e32 v28, v36, v28
	v_sub_f32_e32 v36, v33, v37
	;; [unrolled: 1-line block ×3, first 2 shown]
	v_fma_f32 v50, -0.5, v40, v21
	v_add_f32_e32 v21, v32, v25
	v_fmac_f32_e32 v52, 0x3f737871, v24
	v_sub_f32_e32 v25, v29, v25
	v_add_f32_e32 v29, v22, v34
	v_fmac_f32_e32 v42, 0xbf167918, v28
	v_add_f32_e32 v32, v36, v43
	v_fmamk_f32 v43, v28, 0x3f737871, v50
	v_sub_f32_e32 v33, v37, v33
	v_fmac_f32_e32 v52, 0x3f167918, v28
	v_fmac_f32_e32 v50, 0xbf737871, v28
	v_add_f32_e32 v28, v29, v38
	v_add_f32_e32 v29, v38, v30
	v_fmac_f32_e32 v43, 0xbf167918, v24
	v_add_f32_e32 v25, v33, v25
	v_fmac_f32_e32 v50, 0x3f167918, v24
	v_add_f32_e32 v24, v28, v30
	v_fma_f32 v28, -0.5, v29, v22
	v_add_f32_e32 v29, v34, v26
	v_fmac_f32_e32 v42, 0x3e9e377a, v32
	v_fmac_f32_e32 v52, 0x3e9e377a, v32
	;; [unrolled: 1-line block ×3, first 2 shown]
	v_sub_f32_e32 v32, v35, v27
	v_fmac_f32_e32 v50, 0x3e9e377a, v25
	v_sub_f32_e32 v25, v39, v31
	v_fma_f32 v22, -0.5, v29, v22
	v_add_f32_e32 v45, v45, v49
	v_fmamk_f32 v29, v32, 0x3f737871, v28
	v_sub_f32_e32 v33, v34, v38
	v_sub_f32_e32 v36, v26, v30
	v_fmac_f32_e32 v28, 0xbf737871, v32
	v_fmamk_f32 v37, v25, 0xbf737871, v22
	v_fmac_f32_e32 v22, 0x3f737871, v25
	v_fmac_f32_e32 v48, 0x3e9e377a, v45
	;; [unrolled: 1-line block ×3, first 2 shown]
	v_sub_f32_e32 v40, v38, v34
	v_sub_f32_e32 v45, v30, v26
	v_fmac_f32_e32 v29, 0x3f167918, v25
	v_add_f32_e32 v33, v33, v36
	v_fmac_f32_e32 v28, 0xbf167918, v25
	v_fmac_f32_e32 v37, 0x3f167918, v32
	v_add_f32_e32 v25, v39, v31
	v_fmac_f32_e32 v22, 0xbf167918, v32
	v_add_f32_e32 v32, v35, v27
	v_add_f32_e32 v36, v40, v45
	v_fmac_f32_e32 v29, 0x3e9e377a, v33
	v_fmac_f32_e32 v28, 0x3e9e377a, v33
	v_add_f32_e32 v33, v23, v35
	v_fma_f32 v25, -0.5, v25, v23
	v_sub_f32_e32 v30, v38, v30
	v_fmac_f32_e32 v23, -0.5, v32
	v_add_f32_e32 v24, v24, v26
	v_fmac_f32_e32 v37, 0x3e9e377a, v36
	v_sub_f32_e32 v26, v34, v26
	v_fmac_f32_e32 v22, 0x3e9e377a, v36
	v_sub_f32_e32 v34, v35, v39
	v_fmamk_f32 v40, v30, 0x3f737871, v23
	v_sub_f32_e32 v35, v39, v35
	v_sub_f32_e32 v36, v31, v27
	v_add_f32_e32 v32, v33, v39
	v_fmamk_f32 v33, v26, 0xbf737871, v25
	v_sub_f32_e32 v38, v27, v31
	v_fmac_f32_e32 v23, 0xbf737871, v30
	v_fmac_f32_e32 v40, 0xbf167918, v26
	v_add_f32_e32 v35, v35, v36
	v_fmac_f32_e32 v25, 0x3f737871, v26
	v_fmac_f32_e32 v33, 0xbf167918, v30
	v_add_f32_e32 v34, v34, v38
	v_fmac_f32_e32 v23, 0x3f167918, v26
	v_fmac_f32_e32 v40, 0x3e9e377a, v35
	;; [unrolled: 1-line block ×3, first 2 shown]
	v_add_f32_e32 v26, v32, v31
	v_fmac_f32_e32 v33, 0x3e9e377a, v34
	v_fmac_f32_e32 v23, 0x3e9e377a, v35
	v_mul_f32_e32 v45, 0x3f4f1bbd, v29
	v_mul_f32_e32 v49, 0x3f737871, v40
	;; [unrolled: 1-line block ×3, first 2 shown]
	v_fmac_f32_e32 v25, 0x3e9e377a, v34
	v_mul_f32_e32 v31, 0x3f4f1bbd, v28
	v_mul_f32_e32 v29, 0xbf167918, v29
	;; [unrolled: 1-line block ×3, first 2 shown]
	v_add_f32_e32 v26, v26, v27
	v_fmac_f32_e32 v45, 0x3f167918, v33
	v_fmac_f32_e32 v49, 0x3e9e377a, v37
	v_fma_f32 v27, 0x3f737871, v23, -v30
	v_add_f32_e32 v30, v41, v24
	v_fma_f32 v51, 0x3f167918, v25, -v31
	v_mul_f32_e32 v23, 0x3e9e377a, v23
	v_mul_f32_e32 v25, 0x3f4f1bbd, v25
	v_fmac_f32_e32 v29, 0x3f4f1bbd, v33
	v_fmac_f32_e32 v53, 0x3e9e377a, v40
	v_sub_f32_e32 v40, v41, v24
	v_add_f32_e32 v24, v16, v8
	v_add_f32_e32 v32, v47, v45
	;; [unrolled: 1-line block ×5, first 2 shown]
	v_fma_f32 v22, 0xbf737871, v22, -v23
	v_fma_f32 v23, 0xbf167918, v28, -v25
	v_add_f32_e32 v33, v42, v29
	v_sub_f32_e32 v45, v47, v45
	v_sub_f32_e32 v47, v48, v49
	;; [unrolled: 1-line block ×4, first 2 shown]
	v_add_f32_e32 v25, v0, v12
	v_fma_f32 v20, -0.5, v24, v0
	v_sub_f32_e32 v27, v13, v5
	v_sub_f32_e32 v46, v42, v29
	v_add_f32_e32 v29, v12, v4
	v_add_f32_e32 v31, v21, v26
	v_sub_f32_e32 v41, v21, v26
	v_add_f32_e32 v24, v25, v16
	v_fmamk_f32 v21, v27, 0x3f737871, v20
	v_sub_f32_e32 v25, v17, v9
	v_sub_f32_e32 v26, v12, v16
	;; [unrolled: 1-line block ×3, first 2 shown]
	v_fmac_f32_e32 v0, -0.5, v29
	v_fmac_f32_e32 v20, 0xbf737871, v27
	v_add_f32_e32 v29, v1, v13
	v_add_f32_e32 v37, v50, v22
	;; [unrolled: 1-line block ×3, first 2 shown]
	v_sub_f32_e32 v50, v50, v22
	v_add_f32_e32 v22, v24, v8
	v_fmac_f32_e32 v21, 0x3f167918, v25
	v_add_f32_e32 v26, v26, v28
	v_sub_f32_e32 v52, v52, v23
	v_fmamk_f32 v23, v25, 0xbf737871, v0
	v_sub_f32_e32 v24, v16, v12
	v_sub_f32_e32 v28, v8, v4
	v_fmac_f32_e32 v20, 0xbf167918, v25
	v_add_f32_e32 v42, v17, v9
	v_fmac_f32_e32 v0, 0x3f737871, v25
	v_add_f32_e32 v25, v29, v17
	v_add_f32_e32 v22, v22, v4
	v_fmac_f32_e32 v21, 0x3e9e377a, v26
	v_add_f32_e32 v28, v24, v28
	v_fma_f32 v24, -0.5, v42, v1
	v_sub_f32_e32 v4, v12, v4
	v_fmac_f32_e32 v20, 0x3e9e377a, v26
	v_add_f32_e32 v25, v25, v9
	v_add_f32_e32 v26, v13, v5
	v_sub_f32_e32 v8, v16, v8
	v_fmamk_f32 v12, v4, 0xbf737871, v24
	v_sub_f32_e32 v29, v5, v9
	v_add_f32_e32 v16, v25, v5
	v_fmac_f32_e32 v1, -0.5, v26
	v_fmac_f32_e32 v24, 0x3f737871, v4
	v_sub_f32_e32 v5, v9, v5
	v_add_f32_e32 v9, v2, v14
	v_fmac_f32_e32 v23, 0x3f167918, v27
	v_fmac_f32_e32 v0, 0xbf167918, v27
	v_sub_f32_e32 v27, v13, v17
	v_fmac_f32_e32 v12, 0xbf167918, v8
	v_fmamk_f32 v25, v8, 0x3f737871, v1
	v_sub_f32_e32 v13, v17, v13
	v_fmac_f32_e32 v24, 0x3f167918, v8
	v_fmac_f32_e32 v1, 0xbf737871, v8
	v_add_f32_e32 v8, v9, v18
	v_add_f32_e32 v9, v18, v10
	;; [unrolled: 1-line block ×3, first 2 shown]
	v_fmac_f32_e32 v25, 0xbf167918, v4
	v_add_f32_e32 v5, v13, v5
	v_fmac_f32_e32 v1, 0x3f167918, v4
	v_add_f32_e32 v4, v8, v10
	v_fma_f32 v8, -0.5, v9, v2
	v_add_f32_e32 v9, v14, v6
	v_sub_f32_e32 v13, v15, v7
	v_fmac_f32_e32 v12, 0x3e9e377a, v26
	v_fmac_f32_e32 v24, 0x3e9e377a, v26
	v_fmac_f32_e32 v25, 0x3e9e377a, v5
	v_fmac_f32_e32 v1, 0x3e9e377a, v5
	v_add_f32_e32 v17, v4, v6
	v_sub_f32_e32 v4, v19, v11
	v_fmac_f32_e32 v2, -0.5, v9
	v_fmamk_f32 v5, v13, 0x3f737871, v8
	v_sub_f32_e32 v9, v14, v18
	v_sub_f32_e32 v26, v6, v10
	v_fmac_f32_e32 v8, 0xbf737871, v13
	v_fmamk_f32 v29, v4, 0xbf737871, v2
	v_fmac_f32_e32 v5, 0x3f167918, v4
	v_fmac_f32_e32 v2, 0x3f737871, v4
	v_add_f32_e32 v9, v9, v26
	v_fmac_f32_e32 v8, 0xbf167918, v4
	v_add_f32_e32 v4, v19, v11
	v_fmac_f32_e32 v23, 0x3e9e377a, v28
	v_fmac_f32_e32 v0, 0x3e9e377a, v28
	;; [unrolled: 1-line block ×4, first 2 shown]
	v_add_f32_e32 v9, v15, v7
	v_sub_f32_e32 v28, v10, v6
	v_fmac_f32_e32 v29, 0x3f167918, v13
	v_fmac_f32_e32 v2, 0xbf167918, v13
	v_add_f32_e32 v13, v3, v15
	v_fma_f32 v4, -0.5, v4, v3
	v_sub_f32_e32 v10, v18, v10
	v_fmac_f32_e32 v3, -0.5, v9
	v_sub_f32_e32 v27, v18, v14
	v_sub_f32_e32 v6, v14, v6
	;; [unrolled: 1-line block ×4, first 2 shown]
	v_fmamk_f32 v42, v10, 0x3f737871, v3
	v_sub_f32_e32 v18, v11, v7
	v_fmac_f32_e32 v3, 0xbf737871, v10
	v_add_f32_e32 v9, v13, v19
	v_fmamk_f32 v13, v6, 0xbf737871, v4
	v_sub_f32_e32 v19, v7, v11
	v_fmac_f32_e32 v42, 0xbf167918, v6
	v_add_f32_e32 v15, v15, v18
	v_fmac_f32_e32 v4, 0x3f737871, v6
	v_fmac_f32_e32 v3, 0x3f167918, v6
	v_add_f32_e32 v26, v27, v28
	v_add_f32_e32 v14, v14, v19
	v_fmac_f32_e32 v42, 0x3e9e377a, v15
	v_fmac_f32_e32 v4, 0x3f167918, v10
	;; [unrolled: 1-line block ×6, first 2 shown]
	v_add_f32_e32 v6, v9, v11
	v_mul_f32_e32 v18, 0x3f4f1bbd, v5
	v_mul_f32_e32 v19, 0x3f737871, v42
	v_fmac_f32_e32 v4, 0x3e9e377a, v14
	v_mul_f32_e32 v28, 0xbf167918, v5
	v_mul_f32_e32 v5, 0x3e9e377a, v3
	v_fmac_f32_e32 v13, 0x3e9e377a, v14
	v_mul_f32_e32 v9, 0x3e9e377a, v2
	v_add_f32_e32 v26, v6, v7
	v_fmac_f32_e32 v19, 0x3e9e377a, v29
	v_mul_f32_e32 v6, 0x3f4f1bbd, v8
	v_mul_f32_e32 v29, 0xbf737871, v29
	;; [unrolled: 1-line block ×3, first 2 shown]
	v_fma_f32 v2, 0xbf737871, v2, -v5
	v_mul_lo_u16 v5, v134, 10
	v_add_co_u32 v56, s0, v134, 30
	v_fmac_f32_e32 v18, 0x3f167918, v13
	v_fma_f32 v27, 0x3f737871, v3, -v9
	v_fma_f32 v3, 0x3f167918, v4, -v6
	v_fmac_f32_e32 v28, 0x3f4f1bbd, v13
	v_fmac_f32_e32 v29, 0x3e9e377a, v42
	v_fma_f32 v13, 0xbf167918, v8, -v7
	v_and_b32_e32 v11, 0xffff, v5
	v_add_co_ci_u32_e64 v44, null, 0, 0, s0
	v_add_f32_e32 v35, v43, v53
	v_sub_f32_e32 v14, v22, v17
	v_sub_f32_e32 v4, v21, v18
	;; [unrolled: 1-line block ×9, first 2 shown]
	v_lshl_add_u32 v144, v11, 3, v135
	v_sub_f32_e32 v11, v24, v13
	v_mul_u32_u24_e32 v137, 10, v56
	v_sub_f32_e32 v48, v43, v53
	s_barrier
	buffer_gl0_inv
	ds_write_b128 v144, v[30:33]
	ds_write_b128 v144, v[34:37] offset:16
	ds_write_b128 v144, v[38:41] offset:32
	;; [unrolled: 1-line block ×4, first 2 shown]
	s_and_saveexec_b32 s0, vcc_lo
	s_cbranch_execz .LBB0_7
; %bb.6:
	v_add_f32_e32 v35, v12, v28
	v_add_f32_e32 v33, v16, v26
	;; [unrolled: 1-line block ×5, first 2 shown]
	v_lshl_add_u32 v0, v137, 3, v135
	v_add_f32_e32 v31, v1, v2
	v_add_f32_e32 v29, v25, v29
	;; [unrolled: 1-line block ×5, first 2 shown]
	ds_write_b128 v0, v[32:35]
	ds_write_b128 v0, v[28:31] offset:16
	ds_write_b128 v0, v[12:15] offset:32
	;; [unrolled: 1-line block ×4, first 2 shown]
.LBB0_7:
	s_or_b32 exec_lo, exec_lo, s0
	v_and_b32_e32 v0, 0xff, v56
	v_add_co_u32 v13, null, v134, 60
	v_mov_b32_e32 v3, 5
	s_waitcnt lgkmcnt(0)
	v_mul_lo_u16 v0, 0xcd, v0
	v_and_b32_e32 v2, 0xff, v13
	s_barrier
	buffer_gl0_inv
	v_add_co_u32 v58, null, 0x5a, v134
	v_lshrrev_b16 v55, 11, v0
	v_and_b32_e32 v0, 0xff, v134
	v_add_co_u32 v57, null, 0x78, v134
	v_add_co_u32 v64, s0, 0xffffffec, v134
	v_mul_lo_u16 v1, v55, 10
	v_mul_lo_u16 v0, 0xcd, v0
	v_add_nc_u32_e32 v92, 0x800, v133
	v_add_co_ci_u32_e64 v65, null, 0, -1, s0
	v_sub_nc_u16 v75, v56, v1
	v_mul_lo_u16 v1, 0xcd, v2
	v_lshrrev_b16 v76, 11, v0
	v_cmp_gt_u16_e64 s0, 20, v134
	v_and_b32_e32 v68, 0xff, v58
	v_lshlrev_b32_sdwa v0, v3, v75 dst_sel:DWORD dst_unused:UNUSED_PAD src0_sel:DWORD src1_sel:BYTE_0
	v_lshrrev_b16 v77, 11, v1
	v_mul_lo_u16 v1, v76, 10
	v_and_b32_e32 v69, 0xff, v57
	v_cndmask_b32_e64 v73, v65, v44, s0
	s_clause 0x1
	global_load_dwordx4 v[24:27], v0, s[4:5]
	global_load_dwordx4 v[16:19], v0, s[4:5] offset:16
	v_sub_nc_u16 v78, v134, v1
	v_mul_lo_u16 v2, v77, 10
	v_cndmask_b32_e64 v72, v64, v56, s0
	v_mul_lo_u16 v44, v68, 41
	v_mul_lo_u16 v82, v69, 41
	v_lshlrev_b16 v0, 2, v78
	v_sub_nc_u16 v79, v13, v2
	v_mov_b32_e32 v80, 50
	v_mad_u16 v76, v76, 50, v78
	v_lshrrev_b16 v83, 11, v44
	v_and_b32_e32 v0, 0xfc, v0
	v_lshlrev_b32_sdwa v1, v3, v79 dst_sel:DWORD dst_unused:UNUSED_PAD src0_sel:DWORD src1_sel:BYTE_0
	v_mul_u32_u24_sdwa v55, v55, v80 dst_sel:DWORD dst_unused:UNUSED_PAD src0_sel:WORD_0 src1_sel:DWORD
	v_mul_u32_u24_sdwa v77, v77, v80 dst_sel:DWORD dst_unused:UNUSED_PAD src0_sel:WORD_0 src1_sel:DWORD
	v_lshrrev_b16 v44, 11, v82
	v_lshlrev_b32_e32 v12, 3, v0
	s_clause 0x3
	global_load_dwordx4 v[20:23], v1, s[4:5]
	global_load_dwordx4 v[0:3], v1, s[4:5] offset:16
	global_load_dwordx4 v[32:35], v12, s[4:5]
	global_load_dwordx4 v[28:31], v12, s[4:5] offset:16
	ds_read2_b64 v[40:43], v133 offset1:30
	ds_read2_b64 v[36:39], v133 offset0:60 offset1:90
	ds_read2_b64 v[45:48], v133 offset0:180 offset1:210
	v_add_nc_u32_e32 v12, 0x400, v133
	ds_read2_b64 v[49:52], v133 offset0:120 offset1:150
	ds_read_b64 v[53:54], v133 offset:3360
	ds_read2_b64 v[64:67], v92 offset0:104 offset1:134
	ds_read2_b64 v[68:71], v92 offset0:44 offset1:74
	v_add_nc_u32_sdwa v55, v55, v75 dst_sel:DWORD dst_unused:UNUSED_PAD src0_sel:DWORD src1_sel:BYTE_0
	ds_read2_b64 v[60:63], v12 offset0:112 offset1:142
	v_and_b32_e32 v75, 0xff, v76
	v_add_nc_u32_sdwa v76, v77, v79 dst_sel:DWORD dst_unused:UNUSED_PAD src0_sel:DWORD src1_sel:BYTE_0
	v_mul_lo_u16 v78, v44, 50
	v_lshl_add_u32 v139, v55, 3, v135
	v_lshlrev_b64 v[73:74], 4, v[72:73]
	v_lshl_add_u32 v140, v75, 3, v135
	v_lshl_add_u32 v138, v76, 3, v135
	v_mul_lo_u16 v77, v83, 50
	s_waitcnt vmcnt(0) lgkmcnt(0)
	s_barrier
	v_add_co_u32 v73, s0, s4, v73
	v_add_co_ci_u32_e64 v74, s0, s5, v74, s0
	buffer_gl0_inv
	v_lshlrev_b32_e32 v59, 4, v134
	v_mov_b32_e32 v81, 4
	v_cmp_lt_u16_e64 s0, 19, v134
	v_lshlrev_b32_e32 v56, 4, v56
	v_lshlrev_b32_e32 v13, 4, v13
	v_mul_f32_e32 v44, v50, v25
	v_mul_f32_e32 v55, v49, v25
	v_mul_f32_e32 v75, v48, v27
	v_mul_f32_e32 v76, v47, v27
	v_mul_f32_e32 v79, v69, v17
	v_mul_f32_e32 v80, v68, v17
	v_mul_f32_e32 v82, v67, v19
	v_mul_f32_e32 v84, v66, v19
	v_fma_f32 v44, v49, v24, -v44
	v_fmac_f32_e32 v55, v50, v24
	v_fma_f32 v47, v47, v26, -v75
	v_fmac_f32_e32 v76, v48, v26
	;; [unrolled: 2-line block ×4, first 2 shown]
	v_add_f32_e32 v95, v43, v55
	v_sub_f32_e32 v98, v47, v48
	v_mul_f32_e32 v49, v52, v21
	v_mul_f32_e32 v50, v51, v21
	;; [unrolled: 1-line block ×14, first 2 shown]
	v_fma_f32 v49, v51, v20, -v49
	v_fmac_f32_e32 v50, v52, v20
	v_fma_f32 v51, v60, v22, -v67
	v_fma_f32 v60, v70, v0, -v69
	v_fmac_f32_e32 v75, v71, v0
	v_fma_f32 v67, v53, v2, -v79
	v_add_f32_e32 v52, v42, v44
	v_add_f32_e32 v53, v47, v48
	v_sub_f32_e32 v69, v44, v47
	v_add_f32_e32 v71, v44, v66
	v_sub_f32_e32 v79, v47, v44
	v_sub_f32_e32 v97, v44, v66
	;; [unrolled: 1-line block ×4, first 2 shown]
	v_mul_f32_e32 v91, v65, v31
	v_mul_f32_e32 v93, v64, v31
	v_fmac_f32_e32 v68, v61, v22
	v_fmac_f32_e32 v82, v54, v2
	v_sub_f32_e32 v54, v55, v84
	v_sub_f32_e32 v70, v66, v48
	;; [unrolled: 1-line block ×3, first 2 shown]
	v_add_f32_e32 v96, v76, v80
	v_add_f32_e32 v100, v55, v84
	v_sub_f32_e32 v55, v76, v55
	v_sub_f32_e32 v101, v80, v84
	v_fma_f32 v85, v38, v32, -v85
	v_fmac_f32_e32 v86, v39, v32
	v_fma_f32 v87, v45, v34, -v87
	v_fmac_f32_e32 v88, v46, v34
	;; [unrolled: 2-line block ×3, first 2 shown]
	v_add_f32_e32 v45, v52, v47
	v_fma_f32 v38, -0.5, v53, v42
	v_fma_f32 v42, -0.5, v71, v42
	v_add_f32_e32 v71, v44, v99
	v_add_f32_e32 v44, v36, v49
	v_sub_f32_e32 v52, v49, v51
	v_sub_f32_e32 v53, v67, v60
	v_fma_f32 v89, v64, v30, -v91
	v_fmac_f32_e32 v93, v65, v30
	v_sub_f32_e32 v63, v51, v49
	v_sub_f32_e32 v64, v60, v67
	;; [unrolled: 1-line block ×3, first 2 shown]
	v_add_f32_e32 v69, v69, v70
	v_add_f32_e32 v70, v79, v94
	;; [unrolled: 1-line block ×3, first 2 shown]
	v_fma_f32 v39, -0.5, v96, v43
	v_fmac_f32_e32 v43, -0.5, v100
	v_add_f32_e32 v76, v55, v101
	v_add_f32_e32 v47, v51, v60
	v_sub_f32_e32 v79, v50, v82
	v_add_f32_e32 v55, v49, v67
	v_add_f32_e32 v65, v37, v50
	v_sub_f32_e32 v95, v49, v67
	v_sub_f32_e32 v96, v51, v60
	;; [unrolled: 1-line block ×3, first 2 shown]
	v_add_f32_e32 v100, v50, v82
	v_sub_f32_e32 v50, v68, v50
	v_sub_f32_e32 v101, v75, v82
	v_add_f32_e32 v102, v40, v85
	v_add_f32_e32 v103, v87, v62
	;; [unrolled: 1-line block ×9, first 2 shown]
	v_sub_f32_e32 v91, v68, v75
	v_add_f32_e32 v94, v68, v75
	v_sub_f32_e32 v104, v86, v93
	v_sub_f32_e32 v105, v88, v90
	;; [unrolled: 1-line block ×4, first 2 shown]
	v_fma_f32 v44, -0.5, v47, v36
	v_fma_f32 v36, -0.5, v55, v36
	v_sub_f32_e32 v85, v85, v89
	v_sub_f32_e32 v148, v87, v62
	v_add_f32_e32 v55, v65, v68
	v_sub_f32_e32 v53, v86, v88
	v_sub_f32_e32 v63, v93, v90
	;; [unrolled: 1-line block ×4, first 2 shown]
	v_add_f32_e32 v86, v50, v101
	v_add_f32_e32 v87, v102, v87
	;; [unrolled: 1-line block ×3, first 2 shown]
	v_fma_f32 v50, -0.5, v103, v40
	v_fma_f32 v51, -0.5, v52, v41
	;; [unrolled: 1-line block ×4, first 2 shown]
	v_sub_f32_e32 v99, v82, v75
	v_add_f32_e32 v141, v45, v48
	v_sub_f32_e32 v107, v89, v62
	v_add_f32_e32 v80, v46, v80
	v_sub_f32_e32 v143, v62, v89
	v_fma_f32 v45, -0.5, v94, v37
	v_fmac_f32_e32 v37, -0.5, v100
	v_fmamk_f32 v46, v54, 0x3f737871, v38
	v_fmac_f32_e32 v38, 0xbf737871, v54
	v_fmamk_f32 v48, v61, 0xbf737871, v42
	v_fmac_f32_e32 v42, 0x3f737871, v61
	v_add_f32_e32 v101, v53, v63
	v_add_f32_e32 v102, v65, v68
	;; [unrolled: 1-line block ×4, first 2 shown]
	v_fmamk_f32 v62, v104, 0x3f737871, v50
	v_fmamk_f32 v63, v85, 0xbf737871, v51
	;; [unrolled: 1-line block ×3, first 2 shown]
	v_fmac_f32_e32 v40, 0x3f737871, v105
	v_fmamk_f32 v65, v148, 0x3f737871, v41
	v_fmac_f32_e32 v41, 0xbf737871, v148
	v_fmac_f32_e32 v50, 0xbf737871, v104
	;; [unrolled: 1-line block ×3, first 2 shown]
	v_fmamk_f32 v47, v97, 0xbf737871, v39
	v_add_f32_e32 v94, v49, v99
	v_fmamk_f32 v49, v98, 0x3f737871, v43
	v_fmac_f32_e32 v43, 0xbf737871, v98
	v_add_f32_e32 v52, v141, v66
	v_add_f32_e32 v66, v145, v60
	v_fmamk_f32 v60, v91, 0xbf737871, v36
	v_fmac_f32_e32 v36, 0x3f737871, v91
	v_fmac_f32_e32 v39, 0x3f737871, v97
	v_add_f32_e32 v99, v106, v107
	v_fmac_f32_e32 v46, 0x3f167918, v61
	v_fmac_f32_e32 v38, 0xbf167918, v61
	v_fmac_f32_e32 v48, 0x3f167918, v54
	v_fmac_f32_e32 v42, 0xbf167918, v54
	v_add_f32_e32 v53, v80, v84
	v_fmamk_f32 v54, v79, 0x3f737871, v44
	v_fmac_f32_e32 v44, 0xbf737871, v79
	v_fmamk_f32 v55, v95, 0xbf737871, v45
	v_fmac_f32_e32 v45, 0x3f737871, v95
	;; [unrolled: 2-line block ×3, first 2 shown]
	v_add_f32_e32 v80, v88, v90
	v_fmac_f32_e32 v62, 0x3f167918, v105
	v_fmac_f32_e32 v63, 0xbf167918, v148
	v_add_f32_e32 v100, v142, v143
	v_fmac_f32_e32 v64, 0x3f167918, v104
	v_fmac_f32_e32 v40, 0xbf167918, v104
	;; [unrolled: 1-line block ×13, first 2 shown]
	v_add_f32_e32 v66, v66, v67
	v_fmac_f32_e32 v54, 0x3f167918, v91
	v_fmac_f32_e32 v44, 0xbf167918, v91
	;; [unrolled: 1-line block ×3, first 2 shown]
	v_add_f32_e32 v67, v68, v82
	v_fmac_f32_e32 v55, 0xbf167918, v96
	v_fmac_f32_e32 v45, 0x3f167918, v96
	v_fmac_f32_e32 v61, 0xbf167918, v95
	v_fmac_f32_e32 v37, 0x3f167918, v95
	v_add_f32_e32 v68, v75, v89
	v_add_f32_e32 v69, v80, v93
	v_fmac_f32_e32 v62, 0x3e9e377a, v99
	v_fmac_f32_e32 v63, 0x3e9e377a, v101
	;; [unrolled: 1-line block ×22, first 2 shown]
	ds_write2_b64 v140, v[68:69], v[62:63] offset1:10
	ds_write2_b64 v140, v[64:65], v[40:41] offset0:20 offset1:30
	ds_write_b64 v140, v[50:51] offset:320
	ds_write2_b64 v139, v[52:53], v[46:47] offset1:10
	ds_write2_b64 v139, v[48:49], v[42:43] offset0:20 offset1:30
	ds_write_b64 v139, v[38:39] offset:320
	;; [unrolled: 3-line block ×3, first 2 shown]
	v_sub_nc_u16 v36, v57, v78
	v_sub_nc_u16 v75, v58, v77
	s_waitcnt lgkmcnt(0)
	s_barrier
	buffer_gl0_inv
	global_load_dwordx4 v[48:51], v[73:74], off offset:320
	v_and_b32_e32 v73, 0xff, v36
	s_clause 0x1
	global_load_dwordx4 v[52:55], v59, s[4:5] offset:320
	global_load_dwordx4 v[44:47], v59, s[4:5] offset:480
	v_lshlrev_b32_sdwa v36, v81, v75 dst_sel:DWORD dst_unused:UNUSED_PAD src0_sel:DWORD src1_sel:BYTE_0
	v_mov_b32_e32 v64, 0x96
	v_lshlrev_b32_e32 v37, 4, v73
	s_clause 0x1
	global_load_dwordx4 v[40:43], v36, s[4:5] offset:320
	global_load_dwordx4 v[36:39], v37, s[4:5] offset:320
	v_cndmask_b32_e64 v68, 0, 0x96, s0
	v_mul_u32_u24_sdwa v74, v83, v64 dst_sel:DWORD dst_unused:UNUSED_PAD src0_sel:WORD_0 src1_sel:DWORD
	ds_read2_b64 v[60:63], v133 offset0:120 offset1:150
	ds_read2_b64 v[64:67], v92 offset0:44 offset1:74
	v_lshl_add_u32 v141, v73, 3, v135
	v_add_nc_u32_e32 v72, v72, v68
	v_add_nc_u32_sdwa v76, v74, v75 dst_sel:DWORD dst_unused:UNUSED_PAD src0_sel:DWORD src1_sel:BYTE_0
	ds_read2_b64 v[68:71], v133 offset0:180 offset1:210
	v_add_nc_u32_e32 v90, 0x800, v141
	v_lshl_add_u32 v143, v72, 3, v135
	ds_read2_b64 v[72:75], v92 offset0:104 offset1:134
	v_lshl_add_u32 v142, v76, 3, v135
	ds_read2_b64 v[76:79], v12 offset0:112 offset1:142
	ds_read2_b64 v[80:83], v133 offset1:30
	ds_read2_b64 v[84:87], v133 offset0:60 offset1:90
	ds_read_b64 v[88:89], v133 offset:3360
	s_waitcnt vmcnt(0) lgkmcnt(0)
	s_barrier
	buffer_gl0_inv
	v_mul_f32_e32 v96, v69, v49
	v_mul_f32_e32 v97, v68, v49
	;; [unrolled: 1-line block ×20, first 2 shown]
	v_fma_f32 v64, v64, v54, -v94
	v_fmac_f32_e32 v95, v65, v54
	v_fma_f32 v62, v62, v52, -v91
	v_fmac_f32_e32 v93, v63, v52
	;; [unrolled: 2-line block ×10, first 2 shown]
	v_add_f32_e32 v71, v62, v64
	v_add_f32_e32 v75, v93, v95
	;; [unrolled: 1-line block ×7, first 2 shown]
	v_sub_f32_e32 v77, v93, v95
	v_add_f32_e32 v73, v81, v93
	v_sub_f32_e32 v78, v62, v64
	v_add_f32_e32 v76, v82, v63
	;; [unrolled: 2-line block ×3, first 2 shown]
	v_add_f32_e32 v94, v84, v66
	v_sub_f32_e32 v97, v101, v103
	v_add_f32_e32 v98, v85, v101
	v_sub_f32_e32 v101, v66, v68
	v_add_f32_e32 v102, v86, v67
	v_add_f32_e32 v104, v67, v72
	v_sub_f32_e32 v106, v105, v107
	v_add_f32_e32 v136, v87, v105
	;; [unrolled: 3-line block ×3, first 2 shown]
	v_sub_f32_e32 v150, v145, v147
	v_add_f32_e32 v151, v61, v145
	v_add_f32_e32 v145, v145, v147
	v_fma_f32 v66, -0.5, v71, v80
	v_fma_f32 v67, -0.5, v75, v81
	v_sub_f32_e32 v93, v63, v65
	v_fma_f32 v82, -0.5, v79, v82
	v_fmac_f32_e32 v83, -0.5, v91
	v_add_f32_e32 v62, v70, v64
	v_fma_f32 v70, -0.5, v96, v84
	v_fma_f32 v71, -0.5, v100, v85
	v_add_f32_e32 v148, v60, v69
	v_sub_f32_e32 v152, v69, v74
	v_add_f32_e32 v63, v73, v95
	v_add_f32_e32 v64, v76, v65
	v_fma_f32 v86, -0.5, v104, v86
	v_fmac_f32_e32 v87, -0.5, v105
	v_fma_f32 v60, -0.5, v149, v60
	v_fmac_f32_e32 v61, -0.5, v145
	v_fmamk_f32 v76, v77, 0x3f5db3d7, v66
	v_fmac_f32_e32 v66, 0xbf5db3d7, v77
	v_fmamk_f32 v77, v78, 0xbf5db3d7, v67
	v_fmac_f32_e32 v67, 0x3f5db3d7, v78
	v_add_f32_e32 v65, v89, v99
	v_fmamk_f32 v78, v88, 0x3f5db3d7, v82
	v_fmamk_f32 v79, v93, 0xbf5db3d7, v83
	v_fmac_f32_e32 v82, 0xbf5db3d7, v88
	v_fmac_f32_e32 v83, 0x3f5db3d7, v93
	v_add_f32_e32 v68, v94, v68
	v_add_f32_e32 v69, v98, v103
	v_fmamk_f32 v80, v97, 0x3f5db3d7, v70
	v_fmac_f32_e32 v70, 0xbf5db3d7, v97
	v_fmamk_f32 v81, v101, 0xbf5db3d7, v71
	v_fmac_f32_e32 v71, 0x3f5db3d7, v101
	v_add_f32_e32 v72, v102, v72
	v_add_f32_e32 v73, v136, v107
	v_add_f32_e32 v74, v148, v74
	v_add_f32_e32 v75, v151, v147
	v_fmamk_f32 v84, v106, 0x3f5db3d7, v86
	v_fmac_f32_e32 v86, 0xbf5db3d7, v106
	v_fmamk_f32 v85, v146, 0xbf5db3d7, v87
	v_fmac_f32_e32 v87, 0x3f5db3d7, v146
	v_fmamk_f32 v88, v150, 0x3f5db3d7, v60
	v_fmac_f32_e32 v60, 0xbf5db3d7, v150
	v_fmamk_f32 v89, v152, 0xbf5db3d7, v61
	v_fmac_f32_e32 v61, 0x3f5db3d7, v152
	ds_write2_b64 v133, v[62:63], v[76:77] offset1:50
	ds_write_b64 v133, v[66:67] offset:800
	ds_write2_b64 v143, v[64:65], v[78:79] offset1:50
	ds_write_b64 v143, v[82:83] offset:800
	ds_write2_b64 v133, v[68:69], v[80:81] offset0:160 offset1:210
	ds_write_b64 v133, v[70:71] offset:2080
	ds_write2_b64 v142, v[72:73], v[84:85] offset1:50
	ds_write_b64 v142, v[86:87] offset:800
	ds_write2_b64 v90, v[74:75], v[88:89] offset0:44 offset1:94
	ds_write_b64 v141, v[60:61] offset:3200
	s_waitcnt lgkmcnt(0)
	s_barrier
	buffer_gl0_inv
	s_clause 0x1
	global_load_dwordx4 v[68:71], v56, s[4:5] offset:1120
	global_load_dwordx4 v[64:67], v13, s[4:5] offset:1120
	v_lshlrev_b32_e32 v56, 4, v58
	v_lshlrev_b32_e32 v13, 4, v57
	s_clause 0x2
	global_load_dwordx4 v[72:75], v59, s[4:5] offset:1120
	global_load_dwordx4 v[60:63], v56, s[4:5] offset:1120
	global_load_dwordx4 v[56:59], v13, s[4:5] offset:1120
	ds_read2_b64 v[84:87], v92 offset0:44 offset1:74
	ds_read2_b64 v[93:96], v133 offset0:180 offset1:210
	;; [unrolled: 1-line block ×5, first 2 shown]
	ds_read2_b64 v[145:148], v133 offset1:30
	ds_read_b64 v[149:150], v133 offset:3360
	ds_read2_b64 v[80:83], v133 offset0:60 offset1:90
	v_lshlrev_b32_e32 v13, 3, v134
	v_lshl_add_u32 v136, v134, 3, v135
	v_add_co_u32 v91, s0, s6, v13
	v_add_co_ci_u32_e64 v107, null, s7, 0, s0
	v_add_nc_u32_e32 v88, 0x800, v136
	v_add_co_u32 v89, s0, 0x800, v91
	v_add_co_ci_u32_e64 v90, s0, 0, v107, s0
	v_add_co_u32 v12, s0, 0xe10, v91
	v_add_co_ci_u32_e64 v13, s0, 0, v107, s0
	v_add_co_u32 v105, s0, 0x1000, v91
	v_add_co_ci_u32_e64 v106, s0, 0, v107, s0
	s_waitcnt vmcnt(4) lgkmcnt(6)
	v_mul_f32_e32 v153, v94, v69
	v_mul_f32_e32 v154, v87, v71
	;; [unrolled: 1-line block ×4, first 2 shown]
	s_waitcnt vmcnt(2)
	v_mul_f32_e32 v151, v85, v75
	v_mul_f32_e32 v152, v84, v75
	;; [unrolled: 1-line block ×4, first 2 shown]
	s_waitcnt lgkmcnt(3)
	v_mul_f32_e32 v167, v79, v73
	v_mul_f32_e32 v168, v78, v73
	;; [unrolled: 1-line block ×4, first 2 shown]
	s_waitcnt vmcnt(0)
	v_mul_f32_e32 v165, v104, v57
	v_mul_f32_e32 v161, v102, v61
	;; [unrolled: 1-line block ×6, first 2 shown]
	s_waitcnt lgkmcnt(1)
	v_mul_f32_e32 v169, v150, v59
	v_mul_f32_e32 v170, v149, v59
	v_fma_f32 v84, v84, v74, -v151
	v_fmac_f32_e32 v152, v85, v74
	v_fma_f32 v85, v86, v70, -v154
	v_fmac_f32_e32 v155, v87, v70
	v_fma_f32 v86, v93, v68, -v153
	v_fmac_f32_e32 v156, v94, v68
	v_fma_f32 v87, v95, v64, -v157
	v_fmac_f32_e32 v158, v96, v64
	v_fma_f32 v78, v78, v72, -v167
	v_fmac_f32_e32 v168, v79, v72
	v_fma_f32 v93, v97, v66, -v159
	v_fmac_f32_e32 v160, v98, v66
	v_fma_f32 v95, v103, v56, -v165
	v_fma_f32 v97, v99, v62, -v162
	v_fmac_f32_e32 v163, v100, v62
	v_fma_f32 v94, v101, v60, -v161
	v_fmac_f32_e32 v164, v102, v60
	v_fmac_f32_e32 v166, v104, v56
	v_fma_f32 v99, v149, v58, -v169
	v_fmac_f32_e32 v170, v150, v58
	v_add_f32_e32 v79, v147, v86
	v_add_f32_e32 v96, v148, v156
	s_waitcnt lgkmcnt(0)
	v_add_f32_e32 v98, v80, v87
	v_add_f32_e32 v100, v81, v158
	;; [unrolled: 1-line block ×7, first 2 shown]
	v_sub_f32_e32 v157, v158, v160
	v_add_f32_e32 v158, v158, v160
	v_add_f32_e32 v159, v87, v93
	;; [unrolled: 1-line block ×3, first 2 shown]
	v_sub_f32_e32 v103, v156, v155
	v_sub_f32_e32 v104, v86, v85
	;; [unrolled: 1-line block ×4, first 2 shown]
	v_add_f32_e32 v156, v146, v168
	v_sub_f32_e32 v161, v87, v93
	v_add_f32_e32 v162, v83, v164
	v_sub_f32_e32 v165, v164, v163
	v_add_f32_e32 v164, v164, v163
	v_add_f32_e32 v167, v82, v94
	;; [unrolled: 1-line block ×3, first 2 shown]
	v_sub_f32_e32 v169, v94, v97
	v_sub_f32_e32 v171, v166, v170
	v_add_f32_e32 v172, v77, v166
	v_add_f32_e32 v166, v166, v170
	;; [unrolled: 1-line block ×7, first 2 shown]
	v_fma_f32 v93, -0.5, v149, v145
	v_fma_f32 v94, -0.5, v150, v146
	;; [unrolled: 1-line block ×3, first 2 shown]
	v_fmac_f32_e32 v148, -0.5, v101
	v_sub_f32_e32 v175, v95, v99
	v_add_f32_e32 v95, v154, v84
	v_add_f32_e32 v84, v173, v99
	v_fma_f32 v99, -0.5, v159, v80
	v_fma_f32 v100, -0.5, v158, v81
	;; [unrolled: 1-line block ×3, first 2 shown]
	v_fmac_f32_e32 v83, -0.5, v164
	v_fma_f32 v76, -0.5, v174, v76
	v_fmac_f32_e32 v77, -0.5, v166
	ds_write2_b64 v136, v[78:79], v[86:87] offset0:30 offset1:60
	v_fmamk_f32 v78, v151, 0x3f5db3d7, v93
	v_fmamk_f32 v79, v153, 0xbf5db3d7, v94
	;; [unrolled: 1-line block ×4, first 2 shown]
	v_fmac_f32_e32 v93, 0xbf5db3d7, v151
	v_fmac_f32_e32 v94, 0x3f5db3d7, v153
	;; [unrolled: 1-line block ×4, first 2 shown]
	v_fmamk_f32 v103, v157, 0x3f5db3d7, v99
	v_fmamk_f32 v104, v161, 0xbf5db3d7, v100
	v_fmac_f32_e32 v99, 0xbf5db3d7, v157
	v_fmac_f32_e32 v100, 0x3f5db3d7, v161
	v_add_f32_e32 v96, v156, v152
	v_add_f32_e32 v98, v162, v163
	;; [unrolled: 1-line block ×4, first 2 shown]
	v_fmamk_f32 v80, v165, 0x3f5db3d7, v82
	v_fmac_f32_e32 v82, 0xbf5db3d7, v165
	v_fmamk_f32 v81, v169, 0xbf5db3d7, v83
	v_fmac_f32_e32 v83, 0x3f5db3d7, v169
	v_fmamk_f32 v86, v171, 0x3f5db3d7, v76
	v_fmac_f32_e32 v76, 0xbf5db3d7, v171
	v_fmamk_f32 v87, v175, 0xbf5db3d7, v77
	v_fmac_f32_e32 v77, 0x3f5db3d7, v175
	ds_write2_b64 v136, v[78:79], v[101:102] offset0:150 offset1:180
	ds_write2_b64 v88, v[93:94], v[147:148] offset0:44 offset1:74
	ds_write_b64 v136, v[103:104] offset:1680
	ds_write_b64 v136, v[99:100] offset:2880
	ds_write2_b64 v133, v[95:96], v[97:98] offset1:90
	ds_write_b64 v136, v[80:81] offset:1920
	ds_write_b64 v136, v[82:83] offset:3120
	;; [unrolled: 1-line block ×3, first 2 shown]
	ds_write2_b64 v92, v[86:87], v[76:77] offset0:14 offset1:164
	v_add_co_u32 v93, s0, 0x1800, v91
	v_add_co_ci_u32_e64 v94, s0, 0, v107, s0
	s_waitcnt lgkmcnt(0)
	s_barrier
	buffer_gl0_inv
	s_clause 0x9
	global_load_dwordx2 v[78:79], v[89:90], off offset:1552
	global_load_dwordx2 v[89:90], v[12:13], off offset:360
	;; [unrolled: 1-line block ×10, first 2 shown]
	ds_read2_b64 v[93:96], v133 offset1:45
	ds_read2_b64 v[97:100], v133 offset0:90 offset1:135
	ds_read2_b64 v[101:104], v133 offset0:180 offset1:225
	;; [unrolled: 1-line block ×4, first 2 shown]
	s_waitcnt vmcnt(9) lgkmcnt(4)
	v_mul_f32_e32 v168, v94, v79
	v_mul_f32_e32 v91, v93, v79
	s_waitcnt vmcnt(8)
	v_mul_f32_e32 v169, v96, v90
	v_mul_f32_e32 v79, v95, v90
	s_waitcnt vmcnt(5) lgkmcnt(3)
	v_mul_f32_e32 v170, v98, v156
	v_mul_f32_e32 v107, v97, v156
	s_waitcnt vmcnt(3)
	v_mul_f32_e32 v171, v100, v160
	v_mul_f32_e32 v156, v99, v160
	s_waitcnt vmcnt(2) lgkmcnt(2)
	v_mul_f32_e32 v172, v102, v162
	v_mul_f32_e32 v160, v101, v162
	;; [unrolled: 1-line block ×4, first 2 shown]
	s_waitcnt lgkmcnt(1)
	v_mul_f32_e32 v174, v146, v154
	v_mul_f32_e32 v158, v145, v154
	v_mul_f32_e32 v175, v148, v106
	v_mul_f32_e32 v154, v147, v106
	s_waitcnt vmcnt(1) lgkmcnt(0)
	v_mul_f32_e32 v176, v150, v164
	v_mul_f32_e32 v167, v149, v164
	s_waitcnt vmcnt(0)
	v_mul_f32_e32 v177, v152, v166
	v_mul_f32_e32 v164, v151, v166
	v_fma_f32 v90, v93, v78, -v168
	v_fmac_f32_e32 v91, v94, v78
	v_fma_f32 v78, v95, v89, -v169
	v_fmac_f32_e32 v79, v96, v89
	;; [unrolled: 2-line block ×10, first 2 shown]
	ds_write2_b64 v133, v[90:91], v[78:79] offset1:45
	ds_write2_b64 v133, v[106:107], v[155:156] offset0:90 offset1:135
	ds_write2_b64 v133, v[159:160], v[161:162] offset0:180 offset1:225
	;; [unrolled: 1-line block ×4, first 2 shown]
	s_and_saveexec_b32 s1, vcc_lo
	s_cbranch_execz .LBB0_9
; %bb.8:
	s_clause 0x5
	global_load_dwordx2 v[78:79], v[12:13], off offset:240
	global_load_dwordx2 v[89:90], v[12:13], off offset:600
	global_load_dwordx2 v[105:106], v[12:13], off offset:960
	global_load_dwordx2 v[153:154], v[12:13], off offset:1320
	global_load_dwordx2 v[155:156], v[12:13], off offset:1680
	global_load_dwordx2 v[157:158], v[12:13], off offset:2040
	v_add_co_u32 v12, s0, 0x800, v12
	v_add_co_ci_u32_e64 v13, s0, 0, v13, s0
	s_clause 0x3
	global_load_dwordx2 v[159:160], v[12:13], off offset:352
	global_load_dwordx2 v[161:162], v[12:13], off offset:712
	;; [unrolled: 1-line block ×4, first 2 shown]
	ds_read2_b64 v[93:96], v136 offset0:30 offset1:75
	ds_read2_b64 v[97:100], v136 offset0:120 offset1:165
	;; [unrolled: 1-line block ×5, first 2 shown]
	s_waitcnt vmcnt(9) lgkmcnt(4)
	v_mul_f32_e32 v165, v94, v79
	v_mul_f32_e32 v91, v93, v79
	s_waitcnt vmcnt(8)
	v_mul_f32_e32 v167, v96, v90
	v_mul_f32_e32 v79, v95, v90
	s_waitcnt vmcnt(7) lgkmcnt(3)
	v_mul_f32_e32 v168, v98, v106
	v_mul_f32_e32 v107, v97, v106
	s_waitcnt vmcnt(6)
	v_mul_f32_e32 v169, v100, v154
	v_mul_f32_e32 v166, v99, v154
	;; [unrolled: 6-line block ×3, first 2 shown]
	v_fma_f32 v90, v93, v78, -v165
	v_fmac_f32_e32 v91, v94, v78
	v_fma_f32 v78, v95, v89, -v167
	v_fmac_f32_e32 v79, v96, v89
	s_waitcnt vmcnt(3) lgkmcnt(1)
	v_mul_f32_e32 v89, v146, v160
	v_mul_f32_e32 v94, v145, v160
	s_waitcnt vmcnt(2)
	v_mul_f32_e32 v95, v148, v162
	v_mul_f32_e32 v96, v147, v162
	v_fma_f32 v106, v97, v105, -v168
	v_fmac_f32_e32 v107, v98, v105
	v_fma_f32 v165, v99, v153, -v169
	v_fmac_f32_e32 v166, v100, v153
	s_waitcnt vmcnt(1) lgkmcnt(0)
	v_mul_f32_e32 v97, v150, v164
	v_mul_f32_e32 v98, v149, v164
	s_waitcnt vmcnt(0)
	v_mul_f32_e32 v99, v152, v13
	v_mul_f32_e32 v100, v151, v13
	v_fma_f32 v153, v101, v155, -v170
	v_fmac_f32_e32 v154, v102, v155
	v_fma_f32 v155, v103, v157, -v171
	v_fmac_f32_e32 v156, v104, v157
	;; [unrolled: 2-line block ×6, first 2 shown]
	ds_write2_b64 v136, v[90:91], v[78:79] offset0:30 offset1:75
	ds_write2_b64 v136, v[106:107], v[165:166] offset0:120 offset1:165
	;; [unrolled: 1-line block ×5, first 2 shown]
.LBB0_9:
	s_or_b32 exec_lo, exec_lo, s1
	s_waitcnt lgkmcnt(0)
	s_barrier
	buffer_gl0_inv
	ds_read2_b64 v[88:91], v133 offset1:45
	ds_read2_b64 v[104:107], v133 offset0:90 offset1:135
	ds_read2_b64 v[100:103], v133 offset0:180 offset1:225
	ds_read2_b64 v[96:99], v92 offset0:14 offset1:59
	ds_read2_b64 v[92:95], v92 offset0:104 offset1:149
	s_and_saveexec_b32 s0, vcc_lo
	s_cbranch_execz .LBB0_11
; %bb.10:
	ds_read2_b64 v[76:79], v136 offset0:210 offset1:255
	v_add_nc_u32_e32 v8, 0x800, v136
	ds_read2_b64 v[80:83], v136 offset0:30 offset1:75
	ds_read2_b64 v[84:87], v136 offset0:120 offset1:165
	;; [unrolled: 1-line block ×4, first 2 shown]
	s_waitcnt lgkmcnt(4)
	v_mov_b32_e32 v14, v78
	v_mov_b32_e32 v15, v79
.LBB0_11:
	s_or_b32 exec_lo, exec_lo, s0
	s_waitcnt lgkmcnt(1)
	v_add_f32_e32 v13, v100, v96
	v_add_f32_e32 v78, v88, v104
	s_waitcnt lgkmcnt(0)
	v_sub_f32_e32 v79, v105, v93
	v_sub_f32_e32 v146, v104, v100
	v_sub_f32_e32 v147, v92, v96
	v_fma_f32 v13, -0.5, v13, v88
	v_add_f32_e32 v148, v104, v92
	v_sub_f32_e32 v145, v101, v97
	v_add_f32_e32 v78, v78, v100
	v_add_f32_e32 v146, v146, v147
	v_fmamk_f32 v149, v79, 0xbf737871, v13
	v_fma_f32 v147, -0.5, v148, v88
	v_fmac_f32_e32 v13, 0x3f737871, v79
	v_add_f32_e32 v151, v89, v105
	v_sub_f32_e32 v150, v100, v104
	v_add_f32_e32 v78, v78, v96
	v_fmac_f32_e32 v149, 0xbf167918, v145
	v_sub_f32_e32 v88, v96, v92
	v_fmamk_f32 v148, v145, 0x3f737871, v147
	v_fmac_f32_e32 v13, 0x3f167918, v145
	v_add_f32_e32 v152, v101, v97
	v_fmac_f32_e32 v147, 0xbf737871, v145
	v_add_f32_e32 v145, v151, v101
	v_add_f32_e32 v78, v78, v92
	v_fmac_f32_e32 v148, 0xbf167918, v79
	v_add_f32_e32 v88, v150, v88
	v_fma_f32 v150, -0.5, v152, v89
	v_sub_f32_e32 v92, v104, v92
	v_fmac_f32_e32 v147, 0x3f167918, v79
	v_add_f32_e32 v79, v145, v97
	v_add_f32_e32 v104, v105, v93
	v_fmac_f32_e32 v149, 0x3e9e377a, v146
	v_fmac_f32_e32 v13, 0x3e9e377a, v146
	v_fmamk_f32 v145, v92, 0x3f737871, v150
	v_sub_f32_e32 v96, v100, v96
	v_sub_f32_e32 v100, v105, v101
	;; [unrolled: 1-line block ×3, first 2 shown]
	v_fma_f32 v151, -0.5, v104, v89
	v_add_f32_e32 v79, v79, v93
	v_fmac_f32_e32 v150, 0xbf737871, v92
	v_sub_f32_e32 v89, v101, v105
	v_sub_f32_e32 v93, v97, v93
	v_add_f32_e32 v97, v90, v106
	v_fmac_f32_e32 v148, 0x3e9e377a, v88
	v_fmac_f32_e32 v147, 0x3e9e377a, v88
	;; [unrolled: 1-line block ×3, first 2 shown]
	v_add_f32_e32 v88, v100, v146
	v_fmamk_f32 v146, v96, 0xbf737871, v151
	v_fmac_f32_e32 v150, 0xbf167918, v96
	v_add_f32_e32 v89, v89, v93
	v_fmac_f32_e32 v151, 0x3f737871, v96
	v_add_f32_e32 v93, v97, v102
	v_add_f32_e32 v96, v102, v98
	v_fmac_f32_e32 v145, 0x3e9e377a, v88
	v_fmac_f32_e32 v146, 0x3f167918, v92
	;; [unrolled: 1-line block ×4, first 2 shown]
	v_add_f32_e32 v88, v93, v98
	v_fma_f32 v93, -0.5, v96, v90
	v_add_f32_e32 v92, v106, v94
	v_sub_f32_e32 v96, v107, v95
	v_fmac_f32_e32 v146, 0x3e9e377a, v89
	v_fmac_f32_e32 v151, 0x3e9e377a, v89
	v_add_f32_e32 v100, v88, v94
	v_sub_f32_e32 v88, v103, v99
	v_fma_f32 v89, -0.5, v92, v90
	v_fmamk_f32 v97, v96, 0xbf737871, v93
	v_sub_f32_e32 v90, v106, v102
	v_sub_f32_e32 v92, v94, v98
	v_fmac_f32_e32 v93, 0x3f737871, v96
	v_fmamk_f32 v101, v88, 0x3f737871, v89
	v_fmac_f32_e32 v97, 0xbf167918, v88
	v_sub_f32_e32 v104, v102, v106
	v_add_f32_e32 v90, v90, v92
	v_fmac_f32_e32 v93, 0x3f167918, v88
	v_sub_f32_e32 v105, v98, v94
	v_fmac_f32_e32 v89, 0xbf737871, v88
	v_add_f32_e32 v88, v103, v99
	v_fmac_f32_e32 v97, 0x3e9e377a, v90
	v_fmac_f32_e32 v93, 0x3e9e377a, v90
	v_add_f32_e32 v90, v107, v95
	v_fmac_f32_e32 v101, 0xbf167918, v96
	v_add_f32_e32 v92, v104, v105
	v_fmac_f32_e32 v89, 0x3f167918, v96
	v_fma_f32 v96, -0.5, v88, v91
	v_sub_f32_e32 v88, v106, v94
	v_add_f32_e32 v94, v91, v107
	v_sub_f32_e32 v98, v102, v98
	v_fmac_f32_e32 v91, -0.5, v90
	v_fmac_f32_e32 v101, 0x3e9e377a, v92
	v_fmac_f32_e32 v89, 0x3e9e377a, v92
	v_fmamk_f32 v102, v88, 0x3f737871, v96
	v_sub_f32_e32 v90, v107, v103
	v_sub_f32_e32 v92, v95, v99
	v_fmamk_f32 v104, v98, 0xbf737871, v91
	v_sub_f32_e32 v105, v103, v107
	v_sub_f32_e32 v106, v99, v95
	v_fmac_f32_e32 v91, 0x3f737871, v98
	v_fmac_f32_e32 v96, 0xbf737871, v88
	;; [unrolled: 1-line block ×3, first 2 shown]
	v_add_f32_e32 v90, v90, v92
	v_fmac_f32_e32 v104, 0x3f167918, v88
	v_add_f32_e32 v92, v105, v106
	v_fmac_f32_e32 v91, 0xbf167918, v88
	v_fmac_f32_e32 v96, 0xbf167918, v98
	v_add_f32_e32 v88, v94, v103
	v_fmac_f32_e32 v102, 0x3e9e377a, v90
	v_fmac_f32_e32 v104, 0x3e9e377a, v92
	;; [unrolled: 1-line block ×4, first 2 shown]
	v_add_f32_e32 v88, v88, v99
	v_mul_f32_e32 v99, 0xbf167918, v102
	v_mul_f32_e32 v152, 0x3f167918, v97
	v_mul_f32_e32 v103, 0xbf737871, v104
	v_mul_f32_e32 v105, 0xbf737871, v91
	v_mul_f32_e32 v153, 0x3e9e377a, v104
	v_mul_f32_e32 v154, 0xbe9e377a, v91
	v_mul_f32_e32 v106, 0xbf167918, v96
	v_mul_f32_e32 v155, 0xbf4f1bbd, v96
	v_add_f32_e32 v107, v88, v95
	v_fmac_f32_e32 v99, 0x3f4f1bbd, v97
	v_fmac_f32_e32 v152, 0x3f4f1bbd, v102
	;; [unrolled: 1-line block ×8, first 2 shown]
	v_add_nc_u32_e32 v12, 0x3c0, v133
	v_add_f32_e32 v88, v78, v100
	v_add_f32_e32 v90, v149, v99
	;; [unrolled: 1-line block ×10, first 2 shown]
	v_sub_f32_e32 v98, v78, v100
	v_sub_f32_e32 v100, v149, v99
	;; [unrolled: 1-line block ×10, first 2 shown]
	s_barrier
	buffer_gl0_inv
	ds_write_b128 v144, v[88:91]
	ds_write_b128 v144, v[92:95] offset:16
	ds_write_b128 v144, v[96:99] offset:32
	ds_write_b128 v144, v[100:103] offset:48
	ds_write_b128 v144, v[104:107] offset:64
	s_and_saveexec_b32 s0, vcc_lo
	s_cbranch_execz .LBB0_13
; %bb.12:
	v_add_f32_e32 v13, v77, v5
	v_sub_f32_e32 v91, v84, v8
	v_sub_f32_e32 v94, v87, v15
	;; [unrolled: 1-line block ×4, first 2 shown]
	v_fma_f32 v13, -0.5, v13, v81
	v_sub_f32_e32 v79, v9, v5
	v_sub_f32_e32 v101, v76, v4
	v_add_f32_e32 v94, v94, v95
	v_add_f32_e32 v88, v15, v7
	v_fmamk_f32 v95, v91, 0xbf737871, v13
	v_fmac_f32_e32 v13, 0x3f737871, v91
	v_add_f32_e32 v78, v78, v79
	v_add_f32_e32 v79, v85, v9
	;; [unrolled: 1-line block ×3, first 2 shown]
	v_fmac_f32_e32 v95, 0xbf167918, v101
	v_fmac_f32_e32 v13, 0x3f167918, v101
	v_fma_f32 v92, -0.5, v88, v83
	v_sub_f32_e32 v88, v86, v10
	v_sub_f32_e32 v103, v77, v85
	v_fmac_f32_e32 v95, 0x3e9e377a, v78
	v_sub_f32_e32 v104, v5, v9
	v_add_f32_e32 v105, v87, v11
	v_fma_f32 v106, -0.5, v79, v81
	v_add_f32_e32 v79, v86, v10
	v_fmac_f32_e32 v13, 0x3e9e377a, v78
	v_add_f32_e32 v78, v81, v85
	v_add_f32_e32 v81, v83, v87
	v_fma_f32 v93, -0.5, v89, v82
	v_sub_f32_e32 v89, v87, v11
	v_fmamk_f32 v96, v88, 0xbf737871, v92
	v_sub_f32_e32 v97, v14, v6
	v_sub_f32_e32 v100, v15, v7
	v_add_f32_e32 v103, v103, v104
	v_fma_f32 v104, -0.5, v105, v83
	v_fma_f32 v107, -0.5, v79, v82
	v_sub_f32_e32 v79, v15, v87
	v_fmac_f32_e32 v92, 0x3f737871, v88
	v_add_f32_e32 v78, v78, v77
	v_add_f32_e32 v15, v81, v15
	v_sub_f32_e32 v90, v86, v14
	v_sub_f32_e32 v98, v10, v6
	v_fmamk_f32 v99, v89, 0x3f737871, v93
	v_fmac_f32_e32 v96, 0xbf167918, v97
	v_sub_f32_e32 v144, v7, v11
	v_fmamk_f32 v145, v97, 0x3f737871, v104
	v_fmamk_f32 v148, v100, 0xbf737871, v107
	v_fmac_f32_e32 v104, 0xbf737871, v97
	v_fmac_f32_e32 v107, 0x3f737871, v100
	;; [unrolled: 1-line block ×4, first 2 shown]
	v_sub_f32_e32 v83, v85, v9
	v_sub_f32_e32 v81, v84, v76
	;; [unrolled: 1-line block ×4, first 2 shown]
	v_add_f32_e32 v5, v78, v5
	v_add_f32_e32 v7, v15, v7
	;; [unrolled: 1-line block ×4, first 2 shown]
	v_fmac_f32_e32 v99, 0x3f167918, v100
	v_fmac_f32_e32 v148, 0x3f167918, v89
	;; [unrolled: 1-line block ×4, first 2 shown]
	v_add_f32_e32 v89, v76, v4
	v_add_f32_e32 v81, v81, v85
	;; [unrolled: 1-line block ×3, first 2 shown]
	v_fma_f32 v15, -0.5, v15, v80
	v_sub_f32_e32 v5, v76, v84
	v_sub_f32_e32 v9, v4, v8
	v_fmac_f32_e32 v99, 0x3e9e377a, v98
	v_fmac_f32_e32 v93, 0x3e9e377a, v98
	v_fma_f32 v87, -0.5, v89, v80
	v_add_f32_e32 v98, v7, v11
	v_fmamk_f32 v100, v97, 0xbf737871, v15
	v_add_f32_e32 v5, v5, v9
	v_fmac_f32_e32 v15, 0x3f737871, v97
	v_add_f32_e32 v9, v80, v84
	v_add_f32_e32 v11, v82, v86
	v_sub_f32_e32 v146, v14, v86
	v_sub_f32_e32 v147, v6, v10
	v_add_f32_e32 v79, v79, v144
	v_fmac_f32_e32 v145, 0xbf167918, v88
	v_fmac_f32_e32 v104, 0x3f167918, v88
	;; [unrolled: 1-line block ×3, first 2 shown]
	v_fmamk_f32 v105, v101, 0x3f737871, v106
	v_fmac_f32_e32 v106, 0xbf737871, v101
	v_fmac_f32_e32 v92, 0x3e9e377a, v94
	v_fmamk_f32 v94, v83, 0x3f737871, v87
	v_fmac_f32_e32 v100, 0x3f167918, v83
	v_fmac_f32_e32 v15, 0xbf167918, v83
	v_add_f32_e32 v9, v9, v76
	v_add_f32_e32 v11, v11, v14
	v_fmac_f32_e32 v87, 0xbf737871, v83
	v_add_f32_e32 v144, v146, v147
	v_fmac_f32_e32 v145, 0x3e9e377a, v79
	v_fmac_f32_e32 v104, 0x3e9e377a, v79
	;; [unrolled: 1-line block ×4, first 2 shown]
	v_mul_f32_e32 v91, 0x3f167918, v93
	v_fmac_f32_e32 v100, 0x3e9e377a, v5
	v_fmac_f32_e32 v15, 0x3e9e377a, v5
	v_add_f32_e32 v4, v9, v4
	v_add_f32_e32 v5, v11, v6
	v_fmac_f32_e32 v87, 0xbf167918, v97
	v_mul_f32_e32 v76, 0xbf167918, v92
	v_fmac_f32_e32 v148, 0x3e9e377a, v144
	v_mul_f32_e32 v146, 0xbe9e377a, v145
	;; [unrolled: 2-line block ×3, first 2 shown]
	v_mul_f32_e32 v84, 0xbf737871, v145
	v_mul_f32_e32 v14, 0xbf737871, v104
	v_mul_f32_e32 v102, 0xbf4f1bbd, v96
	v_fmac_f32_e32 v94, 0x3f167918, v97
	v_mul_f32_e32 v96, 0xbf167918, v96
	v_fmac_f32_e32 v91, 0x3f4f1bbd, v92
	v_add_f32_e32 v4, v4, v8
	v_add_f32_e32 v8, v5, v10
	v_fmac_f32_e32 v87, 0x3e9e377a, v81
	v_fmac_f32_e32 v76, 0x3f4f1bbd, v93
	;; [unrolled: 1-line block ×11, first 2 shown]
	v_sub_f32_e32 v77, v13, v91
	v_add_f32_e32 v83, v13, v91
	v_add_f32_e32 v81, v85, v98
	v_add_f32_e32 v82, v87, v76
	v_add_f32_e32 v80, v4, v8
	v_lshl_add_u32 v13, v137, 3, v135
	v_sub_f32_e32 v6, v4, v8
	v_add_f32_e32 v11, v105, v146
	v_add_f32_e32 v9, v106, v144
	;; [unrolled: 1-line block ×4, first 2 shown]
	v_sub_f32_e32 v7, v85, v98
	v_add_f32_e32 v5, v95, v102
	v_add_f32_e32 v4, v94, v96
	v_sub_f32_e32 v79, v106, v144
	v_sub_f32_e32 v78, v15, v14
	;; [unrolled: 1-line block ×7, first 2 shown]
	ds_write_b128 v13, v[80:83]
	ds_write_b128 v13, v[8:11] offset:16
	ds_write_b128 v13, v[4:7] offset:32
	;; [unrolled: 1-line block ×4, first 2 shown]
.LBB0_13:
	s_or_b32 exec_lo, exec_lo, s0
	s_waitcnt lgkmcnt(0)
	s_barrier
	buffer_gl0_inv
	ds_read2_b64 v[6:9], v133 offset0:60 offset1:90
	ds_read2_b64 v[76:79], v133 offset0:180 offset1:210
	v_add_nc_u32_e32 v5, 0x400, v133
	ds_read2_b64 v[80:83], v133 offset0:120 offset1:150
	v_add_nc_u32_e32 v4, 0x800, v133
	ds_read2_b64 v[84:87], v5 offset0:112 offset1:142
	ds_read2_b64 v[88:91], v4 offset0:104 offset1:134
	ds_read2_b64 v[92:95], v133 offset1:30
	ds_read_b64 v[10:11], v133 offset:3360
	ds_read2_b64 v[96:99], v4 offset0:44 offset1:74
	s_waitcnt lgkmcnt(0)
	s_barrier
	buffer_gl0_inv
	s_mov_b32 s4, 0x789abcdf
	s_mov_b32 s5, 0x3f623456
	s_mul_hi_u32 s1, s8, 45
	v_mul_f32_e32 v14, v33, v9
	v_mul_f32_e32 v13, v33, v8
	v_mul_f32_e32 v33, v35, v77
	v_mul_f32_e32 v15, v35, v76
	v_mul_f32_e32 v35, v25, v81
	v_mul_f32_e32 v25, v25, v80
	v_fmac_f32_e32 v14, v32, v8
	v_fmac_f32_e32 v33, v34, v76
	v_mul_f32_e32 v76, v29, v87
	v_mul_f32_e32 v8, v29, v86
	v_fma_f32 v32, v32, v9, -v13
	v_mul_f32_e32 v9, v31, v89
	v_mul_f32_e32 v13, v31, v88
	v_fmac_f32_e32 v76, v28, v86
	v_fma_f32 v28, v28, v87, -v8
	v_fmac_f32_e32 v35, v24, v80
	v_fma_f32 v25, v24, v81, -v25
	v_mul_f32_e32 v24, v27, v79
	v_mul_f32_e32 v8, v27, v78
	v_fmac_f32_e32 v9, v30, v88
	v_fma_f32 v30, v30, v89, -v13
	v_mul_f32_e32 v13, v17, v96
	v_fmac_f32_e32 v24, v26, v78
	v_fma_f32 v26, v26, v79, -v8
	v_mul_f32_e32 v8, v19, v90
	v_fma_f32 v29, v34, v77, -v15
	v_mul_f32_e32 v27, v17, v97
	;; [unrolled: 2-line block ×3, first 2 shown]
	v_mul_f32_e32 v13, v21, v82
	v_mul_f32_e32 v15, v23, v84
	v_fma_f32 v79, v18, v91, -v8
	v_add_f32_e32 v8, v33, v76
	v_mul_f32_e32 v31, v19, v91
	v_fmac_f32_e32 v27, v16, v96
	v_fmac_f32_e32 v77, v20, v82
	v_fma_f32 v80, v20, v83, -v13
	v_fma_f32 v81, v22, v85, -v15
	v_mul_f32_e32 v82, v1, v99
	v_mul_f32_e32 v13, v1, v98
	;; [unrolled: 1-line block ×3, first 2 shown]
	v_add_f32_e32 v15, v92, v14
	v_fma_f32 v1, -0.5, v8, v92
	v_sub_f32_e32 v16, v32, v30
	v_add_f32_e32 v19, v14, v9
	v_fmac_f32_e32 v31, v18, v90
	v_fmac_f32_e32 v82, v0, v98
	v_fma_f32 v0, v0, v99, -v13
	v_fmac_f32_e32 v83, v2, v10
	v_add_f32_e32 v13, v15, v33
	v_fmamk_f32 v8, v16, 0xbf737871, v1
	v_sub_f32_e32 v17, v29, v28
	v_sub_f32_e32 v15, v14, v33
	;; [unrolled: 1-line block ×3, first 2 shown]
	v_mul_f32_e32 v3, v3, v10
	v_fma_f32 v10, -0.5, v19, v92
	v_fmac_f32_e32 v1, 0x3f737871, v16
	v_add_f32_e32 v19, v93, v32
	v_fmac_f32_e32 v8, 0xbf167918, v17
	v_add_f32_e32 v18, v15, v18
	v_fma_f32 v3, v2, v11, -v3
	v_fmamk_f32 v15, v17, 0x3f737871, v10
	v_sub_f32_e32 v2, v33, v14
	v_sub_f32_e32 v11, v76, v9
	v_fmac_f32_e32 v1, 0x3f167918, v17
	v_add_f32_e32 v20, v29, v28
	v_fmac_f32_e32 v10, 0xbf737871, v17
	v_add_f32_e32 v17, v19, v29
	v_mul_f32_e32 v78, v23, v85
	v_add_f32_e32 v13, v13, v76
	v_fmac_f32_e32 v15, 0xbf167918, v16
	v_add_f32_e32 v11, v2, v11
	v_fma_f32 v2, -0.5, v20, v93
	v_sub_f32_e32 v20, v14, v9
	v_fmac_f32_e32 v10, 0x3f167918, v16
	v_add_f32_e32 v14, v17, v28
	v_add_f32_e32 v16, v32, v30
	v_sub_f32_e32 v17, v32, v29
	v_sub_f32_e32 v19, v30, v28
	v_fmac_f32_e32 v78, v22, v84
	v_add_f32_e32 v13, v13, v9
	v_fmac_f32_e32 v8, 0x3e9e377a, v18
	v_fmac_f32_e32 v1, 0x3e9e377a, v18
	;; [unrolled: 1-line block ×3, first 2 shown]
	v_fmamk_f32 v9, v20, 0x3f737871, v2
	v_sub_f32_e32 v18, v33, v76
	v_fmac_f32_e32 v10, 0x3e9e377a, v11
	v_fma_f32 v11, -0.5, v16, v93
	v_add_f32_e32 v19, v17, v19
	v_fmac_f32_e32 v2, 0xbf737871, v20
	v_sub_f32_e32 v17, v29, v32
	v_sub_f32_e32 v21, v28, v30
	v_add_f32_e32 v22, v24, v27
	v_add_f32_e32 v23, v94, v35
	;; [unrolled: 1-line block ×3, first 2 shown]
	v_fmac_f32_e32 v9, 0x3f167918, v18
	v_fmamk_f32 v16, v18, 0xbf737871, v11
	v_fmac_f32_e32 v2, 0xbf167918, v18
	v_add_f32_e32 v21, v17, v21
	v_fma_f32 v17, -0.5, v22, v94
	v_sub_f32_e32 v22, v25, v79
	v_fmac_f32_e32 v11, 0x3f737871, v18
	v_add_f32_e32 v18, v23, v24
	v_add_f32_e32 v30, v35, v31
	v_fmac_f32_e32 v9, 0x3e9e377a, v19
	v_fmac_f32_e32 v16, 0x3f167918, v20
	;; [unrolled: 1-line block ×3, first 2 shown]
	v_fmamk_f32 v19, v22, 0xbf737871, v17
	v_sub_f32_e32 v28, v26, v34
	v_sub_f32_e32 v23, v35, v24
	;; [unrolled: 1-line block ×3, first 2 shown]
	v_fmac_f32_e32 v11, 0xbf167918, v20
	v_add_f32_e32 v18, v18, v27
	v_fma_f32 v94, -0.5, v30, v94
	v_fmac_f32_e32 v17, 0x3f737871, v22
	v_add_f32_e32 v30, v95, v25
	v_fmac_f32_e32 v16, 0x3e9e377a, v21
	v_fmac_f32_e32 v19, 0xbf167918, v28
	v_add_f32_e32 v20, v23, v29
	v_fmac_f32_e32 v11, 0x3e9e377a, v21
	v_add_f32_e32 v21, v18, v31
	v_fmamk_f32 v23, v28, 0x3f737871, v94
	v_sub_f32_e32 v18, v24, v35
	v_sub_f32_e32 v29, v27, v31
	v_fmac_f32_e32 v17, 0x3f167918, v28
	v_add_f32_e32 v32, v26, v34
	v_fmac_f32_e32 v94, 0xbf737871, v28
	v_add_f32_e32 v28, v30, v26
	;; [unrolled: 2-line block ×3, first 2 shown]
	v_fma_f32 v18, -0.5, v32, v95
	v_sub_f32_e32 v30, v35, v31
	v_fmac_f32_e32 v94, 0x3f167918, v22
	v_add_f32_e32 v22, v28, v34
	v_add_f32_e32 v28, v25, v79
	v_fmac_f32_e32 v19, 0x3e9e377a, v20
	v_fmac_f32_e32 v17, 0x3e9e377a, v20
	;; [unrolled: 1-line block ×3, first 2 shown]
	v_fmamk_f32 v20, v30, 0x3f737871, v18
	v_sub_f32_e32 v27, v24, v27
	v_sub_f32_e32 v24, v25, v26
	v_sub_f32_e32 v31, v79, v34
	v_fmac_f32_e32 v94, 0x3e9e377a, v29
	v_fmac_f32_e32 v95, -0.5, v28
	v_fmac_f32_e32 v18, 0xbf737871, v30
	v_sub_f32_e32 v25, v26, v25
	v_sub_f32_e32 v26, v34, v79
	v_add_f32_e32 v29, v78, v82
	v_fmac_f32_e32 v20, 0x3f167918, v27
	v_add_f32_e32 v28, v24, v31
	v_fmamk_f32 v24, v27, 0xbf737871, v95
	v_fmac_f32_e32 v18, 0xbf167918, v27
	v_add_f32_e32 v26, v25, v26
	v_fmac_f32_e32 v95, 0x3f737871, v27
	v_add_f32_e32 v27, v6, v77
	v_fma_f32 v25, -0.5, v29, v6
	v_sub_f32_e32 v32, v80, v3
	v_fmac_f32_e32 v20, 0x3e9e377a, v28
	v_fmac_f32_e32 v24, 0x3f167918, v30
	v_fmac_f32_e32 v18, 0x3e9e377a, v28
	v_fmac_f32_e32 v95, 0xbf167918, v30
	v_add_f32_e32 v28, v27, v78
	v_fmamk_f32 v27, v32, 0xbf737871, v25
	v_sub_f32_e32 v30, v81, v0
	v_sub_f32_e32 v29, v77, v78
	;; [unrolled: 1-line block ×3, first 2 shown]
	v_fmac_f32_e32 v25, 0x3f737871, v32
	v_add_f32_e32 v33, v77, v83
	v_fmac_f32_e32 v27, 0xbf167918, v30
	v_add_f32_e32 v28, v28, v82
	v_add_f32_e32 v31, v29, v31
	v_fmac_f32_e32 v25, 0x3f167918, v30
	v_fma_f32 v6, -0.5, v33, v6
	v_fmac_f32_e32 v24, 0x3e9e377a, v26
	v_fmac_f32_e32 v95, 0x3e9e377a, v26
	;; [unrolled: 1-line block ×4, first 2 shown]
	v_fmamk_f32 v31, v30, 0x3f737871, v6
	v_fmac_f32_e32 v6, 0xbf737871, v30
	v_add_f32_e32 v29, v28, v83
	v_add_f32_e32 v26, v81, v0
	v_sub_f32_e32 v28, v78, v77
	v_sub_f32_e32 v33, v82, v83
	v_add_f32_e32 v30, v7, v80
	v_fmac_f32_e32 v31, 0xbf167918, v32
	v_fmac_f32_e32 v6, 0x3f167918, v32
	v_add_f32_e32 v32, v80, v3
	v_fma_f32 v26, -0.5, v26, v7
	v_sub_f32_e32 v34, v77, v83
	v_add_f32_e32 v33, v28, v33
	v_add_f32_e32 v30, v30, v81
	v_sub_f32_e32 v35, v78, v82
	v_fmac_f32_e32 v7, -0.5, v32
	v_fmamk_f32 v28, v34, 0x3f737871, v26
	v_fmac_f32_e32 v31, 0x3e9e377a, v33
	v_fmac_f32_e32 v6, 0x3e9e377a, v33
	v_add_f32_e32 v30, v30, v0
	v_sub_f32_e32 v33, v80, v81
	v_sub_f32_e32 v76, v3, v0
	v_fmac_f32_e32 v26, 0xbf737871, v34
	v_fmamk_f32 v32, v35, 0xbf737871, v7
	v_sub_f32_e32 v77, v81, v80
	v_sub_f32_e32 v0, v0, v3
	v_fmac_f32_e32 v7, 0x3f737871, v35
	v_fmac_f32_e32 v28, 0x3f167918, v35
	v_add_f32_e32 v33, v33, v76
	v_fmac_f32_e32 v26, 0xbf167918, v35
	v_add_f32_e32 v0, v77, v0
	v_fmac_f32_e32 v7, 0xbf167918, v34
	v_fmac_f32_e32 v32, 0x3f167918, v34
	v_add_f32_e32 v22, v22, v79
	v_fmac_f32_e32 v28, 0x3e9e377a, v33
	v_fmac_f32_e32 v26, 0x3e9e377a, v33
	;; [unrolled: 1-line block ×3, first 2 shown]
	v_add_f32_e32 v30, v30, v3
	v_fmac_f32_e32 v32, 0x3e9e377a, v0
	ds_write2_b64 v140, v[13:14], v[8:9] offset1:10
	ds_write2_b64 v140, v[15:16], v[10:11] offset0:20 offset1:30
	ds_write_b64 v140, v[1:2] offset:320
	ds_write2_b64 v139, v[21:22], v[19:20] offset1:10
	ds_write2_b64 v139, v[23:24], v[94:95] offset0:20 offset1:30
	ds_write_b64 v139, v[17:18] offset:320
	;; [unrolled: 3-line block ×3, first 2 shown]
	s_waitcnt lgkmcnt(0)
	s_barrier
	buffer_gl0_inv
	ds_read2_b64 v[0:3], v133 offset0:120 offset1:150
	ds_read2_b64 v[6:9], v4 offset0:44 offset1:74
	;; [unrolled: 1-line block ×3, first 2 shown]
	ds_read2_b64 v[17:20], v133 offset1:30
	ds_read2_b64 v[21:24], v133 offset0:60 offset1:90
	ds_read2_b64 v[25:28], v4 offset0:104 offset1:134
	;; [unrolled: 1-line block ×3, first 2 shown]
	ds_read_b64 v[10:11], v133 offset:3360
	s_waitcnt lgkmcnt(0)
	s_barrier
	buffer_gl0_inv
	v_mul_f32_e32 v33, v53, v3
	v_mul_f32_e32 v34, v53, v2
	;; [unrolled: 1-line block ×3, first 2 shown]
	v_fmac_f32_e32 v33, v52, v2
	v_mul_f32_e32 v2, v55, v6
	v_fma_f32 v3, v52, v3, -v34
	v_mul_f32_e32 v34, v49, v14
	v_fmac_f32_e32 v35, v54, v6
	v_mul_f32_e32 v6, v49, v13
	v_fma_f32 v7, v54, v7, -v2
	v_mul_f32_e32 v2, v51, v8
	;; [unrolled: 4-line block ×3, first 2 shown]
	v_mul_f32_e32 v6, v45, v15
	v_fma_f32 v14, v50, v9, -v2
	v_mul_f32_e32 v45, v47, v26
	v_mul_f32_e32 v2, v47, v25
	v_fmac_f32_e32 v48, v44, v15
	v_fma_f32 v16, v44, v16, -v6
	v_mul_f32_e32 v44, v41, v30
	v_mul_f32_e32 v6, v41, v29
	v_fmac_f32_e32 v45, v46, v25
	v_fma_f32 v25, v46, v26, -v2
	v_mul_f32_e32 v2, v43, v27
	v_fmac_f32_e32 v44, v40, v29
	v_fma_f32 v29, v40, v30, -v6
	v_mul_f32_e32 v30, v37, v32
	v_mul_f32_e32 v6, v37, v31
	v_mul_f32_e32 v26, v43, v28
	v_fma_f32 v28, v42, v28, -v2
	v_mul_f32_e32 v37, v39, v11
	v_fmac_f32_e32 v30, v36, v31
	v_mul_f32_e32 v2, v39, v10
	v_fma_f32 v31, v36, v32, -v6
	v_add_f32_e32 v6, v33, v35
	v_fmac_f32_e32 v49, v50, v8
	v_fmac_f32_e32 v37, v38, v10
	v_add_f32_e32 v8, v17, v33
	v_fma_f32 v32, v38, v11, -v2
	v_add_f32_e32 v9, v3, v7
	v_fma_f32 v2, -0.5, v6, v17
	v_sub_f32_e32 v10, v3, v7
	v_add_f32_e32 v6, v8, v35
	v_add_f32_e32 v11, v18, v3
	v_fma_f32 v3, -0.5, v9, v18
	v_sub_f32_e32 v15, v33, v35
	v_fmamk_f32 v8, v10, 0xbf5db3d7, v2
	v_fmac_f32_e32 v2, 0x3f5db3d7, v10
	v_add_f32_e32 v10, v34, v49
	v_add_f32_e32 v7, v11, v7
	v_fmamk_f32 v9, v15, 0x3f5db3d7, v3
	v_add_f32_e32 v11, v19, v34
	v_fmac_f32_e32 v3, 0xbf5db3d7, v15
	v_add_f32_e32 v15, v13, v14
	v_fma_f32 v19, -0.5, v10, v19
	v_sub_f32_e32 v17, v13, v14
	v_fmac_f32_e32 v26, v42, v27
	v_add_f32_e32 v10, v11, v49
	v_add_f32_e32 v11, v20, v13
	v_fmac_f32_e32 v20, -0.5, v15
	v_sub_f32_e32 v15, v34, v49
	v_fmamk_f32 v13, v17, 0xbf5db3d7, v19
	v_fmac_f32_e32 v19, 0x3f5db3d7, v17
	v_add_f32_e32 v17, v48, v45
	v_add_f32_e32 v18, v21, v48
	v_add_f32_e32 v27, v16, v25
	v_add_f32_e32 v11, v11, v14
	v_fmamk_f32 v14, v15, 0x3f5db3d7, v20
	v_fmac_f32_e32 v20, 0xbf5db3d7, v15
	v_fma_f32 v15, -0.5, v17, v21
	v_sub_f32_e32 v33, v16, v25
	v_add_f32_e32 v17, v18, v45
	v_add_f32_e32 v18, v22, v16
	v_fma_f32 v16, -0.5, v27, v22
	v_sub_f32_e32 v27, v48, v45
	v_fmamk_f32 v21, v33, 0xbf5db3d7, v15
	v_fmac_f32_e32 v15, 0x3f5db3d7, v33
	v_add_f32_e32 v18, v18, v25
	v_add_f32_e32 v25, v44, v26
	v_fmamk_f32 v22, v27, 0x3f5db3d7, v16
	v_add_f32_e32 v33, v23, v44
	v_fmac_f32_e32 v16, 0xbf5db3d7, v27
	v_add_f32_e32 v27, v29, v28
	v_fma_f32 v23, -0.5, v25, v23
	v_sub_f32_e32 v34, v29, v28
	v_add_f32_e32 v25, v33, v26
	v_add_f32_e32 v29, v24, v29
	v_fmac_f32_e32 v24, -0.5, v27
	v_sub_f32_e32 v33, v44, v26
	v_fmamk_f32 v27, v34, 0xbf5db3d7, v23
	v_fmac_f32_e32 v23, 0x3f5db3d7, v34
	v_add_f32_e32 v26, v29, v28
	v_add_f32_e32 v29, v30, v37
	v_fmamk_f32 v28, v33, 0x3f5db3d7, v24
	v_fmac_f32_e32 v24, 0xbf5db3d7, v33
	v_add_f32_e32 v33, v31, v32
	v_add_f32_e32 v34, v0, v30
	v_fma_f32 v0, -0.5, v29, v0
	v_sub_f32_e32 v35, v31, v32
	v_add_f32_e32 v36, v1, v31
	v_fmac_f32_e32 v1, -0.5, v33
	v_sub_f32_e32 v33, v30, v37
	v_add_f32_e32 v29, v34, v37
	v_fmamk_f32 v31, v35, 0xbf5db3d7, v0
	v_fmac_f32_e32 v0, 0x3f5db3d7, v35
	v_add_f32_e32 v30, v36, v32
	v_fmamk_f32 v32, v33, 0x3f5db3d7, v1
	v_fmac_f32_e32 v1, 0xbf5db3d7, v33
	ds_write2_b64 v133, v[6:7], v[8:9] offset1:50
	ds_write_b64 v133, v[2:3] offset:800
	ds_write2_b64 v143, v[10:11], v[13:14] offset1:50
	ds_write_b64 v143, v[19:20] offset:800
	v_add_nc_u32_e32 v2, 0x800, v141
	ds_write2_b64 v133, v[17:18], v[21:22] offset0:160 offset1:210
	ds_write_b64 v133, v[15:16] offset:2080
	ds_write2_b64 v142, v[25:26], v[27:28] offset1:50
	ds_write_b64 v142, v[23:24] offset:800
	ds_write2_b64 v2, v[29:30], v[31:32] offset0:44 offset1:94
	ds_write_b64 v141, v[0:1] offset:3200
	s_waitcnt lgkmcnt(0)
	s_barrier
	buffer_gl0_inv
	ds_read2_b64 v[0:3], v133 offset0:120 offset1:150
	ds_read2_b64 v[6:9], v4 offset0:44 offset1:74
	;; [unrolled: 1-line block ×3, first 2 shown]
	ds_read2_b64 v[17:20], v133 offset1:30
	ds_read2_b64 v[21:24], v133 offset0:60 offset1:90
	ds_read2_b64 v[25:28], v4 offset0:104 offset1:134
	;; [unrolled: 1-line block ×3, first 2 shown]
	ds_read_b64 v[10:11], v133 offset:3360
	s_waitcnt lgkmcnt(7)
	v_mul_f32_e32 v33, v73, v3
	v_mul_f32_e32 v5, v73, v2
	s_waitcnt lgkmcnt(6)
	v_mul_f32_e32 v34, v75, v7
	s_waitcnt lgkmcnt(5)
	v_mul_f32_e32 v35, v69, v14
	v_mul_f32_e32 v37, v65, v16
	v_fmac_f32_e32 v33, v72, v2
	v_mul_f32_e32 v2, v75, v6
	v_fma_f32 v3, v72, v3, -v5
	v_mul_f32_e32 v5, v69, v13
	v_fmac_f32_e32 v34, v74, v6
	v_fmac_f32_e32 v35, v68, v13
	v_fma_f32 v6, v74, v7, -v2
	v_mul_f32_e32 v2, v71, v8
	v_fma_f32 v13, v68, v14, -v5
	v_mul_f32_e32 v5, v65, v15
	s_waitcnt lgkmcnt(2)
	v_mul_f32_e32 v38, v67, v26
	s_waitcnt lgkmcnt(1)
	v_mul_f32_e32 v39, v61, v30
	v_fma_f32 v14, v70, v9, -v2
	v_mul_f32_e32 v2, v67, v25
	v_fma_f32 v16, v64, v16, -v5
	v_mul_f32_e32 v5, v61, v29
	v_fmac_f32_e32 v38, v66, v25
	v_fmac_f32_e32 v39, v60, v29
	v_fma_f32 v25, v66, v26, -v2
	v_mul_f32_e32 v2, v63, v27
	v_fma_f32 v29, v60, v30, -v5
	v_mul_f32_e32 v30, v57, v32
	v_mul_f32_e32 v5, v57, v31
	;; [unrolled: 1-line block ×4, first 2 shown]
	v_fma_f32 v28, v62, v28, -v2
	v_fmac_f32_e32 v30, v56, v31
	s_waitcnt lgkmcnt(0)
	v_mul_f32_e32 v2, v59, v10
	v_fma_f32 v31, v56, v32, -v5
	v_add_f32_e32 v5, v33, v34
	v_fmac_f32_e32 v36, v70, v8
	v_mul_f32_e32 v40, v59, v11
	v_add_f32_e32 v7, v17, v33
	v_fma_f32 v11, v58, v11, -v2
	v_add_f32_e32 v8, v3, v6
	v_fma_f32 v2, -0.5, v5, v17
	v_sub_f32_e32 v9, v3, v6
	v_fmac_f32_e32 v37, v64, v15
	v_fmac_f32_e32 v40, v58, v10
	v_add_f32_e32 v5, v7, v34
	v_add_f32_e32 v10, v18, v3
	v_fma_f32 v3, -0.5, v8, v18
	v_sub_f32_e32 v15, v33, v34
	v_fmamk_f32 v7, v9, 0xbf5db3d7, v2
	v_fmac_f32_e32 v2, 0x3f5db3d7, v9
	v_add_f32_e32 v9, v35, v36
	v_add_f32_e32 v6, v10, v6
	v_fmamk_f32 v8, v15, 0x3f5db3d7, v3
	v_add_f32_e32 v10, v19, v35
	v_fmac_f32_e32 v3, 0xbf5db3d7, v15
	v_add_f32_e32 v15, v13, v14
	v_fma_f32 v19, -0.5, v9, v19
	v_sub_f32_e32 v17, v13, v14
	v_add_f32_e32 v9, v10, v36
	v_add_f32_e32 v10, v20, v13
	v_fmac_f32_e32 v20, -0.5, v15
	v_sub_f32_e32 v15, v35, v36
	v_fmamk_f32 v13, v17, 0xbf5db3d7, v19
	v_fmac_f32_e32 v19, 0x3f5db3d7, v17
	v_add_f32_e32 v17, v37, v38
	v_add_f32_e32 v18, v21, v37
	v_fmac_f32_e32 v26, v62, v27
	v_add_f32_e32 v27, v16, v25
	v_add_f32_e32 v10, v10, v14
	v_fmamk_f32 v14, v15, 0x3f5db3d7, v20
	v_fmac_f32_e32 v20, 0xbf5db3d7, v15
	v_fma_f32 v15, -0.5, v17, v21
	v_add_f32_e32 v17, v18, v38
	v_add_f32_e32 v18, v22, v16
	v_sub_f32_e32 v32, v16, v25
	v_fma_f32 v16, -0.5, v27, v22
	v_sub_f32_e32 v27, v37, v38
	v_sub_f32_e32 v33, v29, v28
	v_add_f32_e32 v18, v18, v25
	v_add_f32_e32 v25, v39, v26
	v_fmamk_f32 v21, v32, 0xbf5db3d7, v15
	v_fmac_f32_e32 v15, 0x3f5db3d7, v32
	v_fmamk_f32 v22, v27, 0x3f5db3d7, v16
	v_add_f32_e32 v32, v23, v39
	v_fmac_f32_e32 v16, 0xbf5db3d7, v27
	v_add_f32_e32 v27, v29, v28
	v_fma_f32 v23, -0.5, v25, v23
	v_add_f32_e32 v29, v24, v29
	v_add_f32_e32 v25, v32, v26
	v_sub_f32_e32 v32, v39, v26
	v_fmac_f32_e32 v24, -0.5, v27
	v_fmamk_f32 v27, v33, 0xbf5db3d7, v23
	v_fmac_f32_e32 v23, 0x3f5db3d7, v33
	v_add_f32_e32 v26, v29, v28
	v_add_f32_e32 v29, v30, v40
	v_add_f32_e32 v33, v0, v30
	v_fmamk_f32 v28, v32, 0x3f5db3d7, v24
	v_fmac_f32_e32 v24, 0xbf5db3d7, v32
	v_add_f32_e32 v32, v31, v11
	v_fma_f32 v0, -0.5, v29, v0
	v_add_f32_e32 v29, v33, v40
	v_add_f32_e32 v33, v1, v31
	v_sub_f32_e32 v34, v31, v11
	v_fmac_f32_e32 v1, -0.5, v32
	v_sub_f32_e32 v35, v30, v40
	v_add_f32_e32 v30, v33, v11
	v_add_nc_u32_e32 v11, 0x800, v136
	v_fmamk_f32 v31, v34, 0xbf5db3d7, v0
	v_fmac_f32_e32 v0, 0x3f5db3d7, v34
	v_fmamk_f32 v32, v35, 0x3f5db3d7, v1
	v_fmac_f32_e32 v1, 0xbf5db3d7, v35
	ds_write_b64 v133, v[5:6]
	ds_write2_b64 v136, v[7:8], v[13:14] offset0:150 offset1:180
	ds_write2_b64 v11, v[2:3], v[19:20] offset0:44 offset1:74
	;; [unrolled: 1-line block ×3, first 2 shown]
	ds_write_b64 v136, v[21:22] offset:1680
	ds_write_b64 v136, v[15:16] offset:2880
	v_add_nc_u32_e32 v2, 0x400, v12
	ds_write_b64 v133, v[25:26] offset:720
	ds_write_b64 v136, v[27:28] offset:1920
	;; [unrolled: 1-line block ×4, first 2 shown]
	ds_write2_b64 v2, v[31:32], v[0:1] offset0:22 offset1:172
	s_waitcnt lgkmcnt(0)
	s_barrier
	buffer_gl0_inv
	ds_read2_b64 v[0:3], v133 offset1:45
	v_mad_u64_u32 v[7:8], null, s10, v120, 0
	v_mad_u64_u32 v[11:12], null, s8, v134, 0
	s_waitcnt lgkmcnt(0)
	v_mul_f32_e32 v5, v132, v1
	v_mul_f32_e32 v6, v132, v0
	;; [unrolled: 1-line block ×3, first 2 shown]
	v_fmac_f32_e32 v5, v131, v0
	v_fma_f32 v6, v131, v1, -v6
	v_fmac_f32_e32 v15, v129, v2
	v_cvt_f64_f32_e32 v[0:1], v5
	v_cvt_f64_f32_e32 v[5:6], v6
	v_mul_f64 v[9:10], v[0:1], s[4:5]
	v_mul_f32_e32 v0, v130, v2
	v_mul_f64 v[5:6], v[5:6], s[4:5]
	v_fma_f32 v0, v129, v3, -v0
	v_cvt_f64_f32_e32 v[16:17], v0
	ds_read2_b64 v[0:3], v133 offset0:90 offset1:135
	v_mad_u64_u32 v[13:14], null, s11, v120, v[8:9]
	v_cvt_f64_f32_e32 v[14:15], v15
	v_cvt_f32_f64_e32 v18, v[9:10]
	v_cvt_f32_f64_e32 v19, v[5:6]
	v_mov_b32_e32 v8, v13
	v_mad_u64_u32 v[12:13], null, s9, v134, v[12:13]
	s_waitcnt lgkmcnt(0)
	v_mul_f32_e32 v5, v128, v0
	v_lshlrev_b64 v[7:8], 3, v[7:8]
	v_fma_f32 v20, v127, v1, -v5
	v_add_co_u32 v24, s0, s2, v7
	v_add_co_ci_u32_e64 v25, s0, s3, v8, s0
	ds_read2_b64 v[5:8], v133 offset0:180 offset1:225
	v_mul_f64 v[9:10], v[14:15], s[4:5]
	v_mul_f32_e32 v15, v128, v1
	v_mul_f64 v[13:14], v[16:17], s[4:5]
	v_mul_f32_e32 v17, v126, v3
	v_mul_f32_e32 v16, v126, v2
	v_fmac_f32_e32 v15, v127, v0
	v_lshlrev_b64 v[0:1], 3, v[11:12]
	v_fmac_f32_e32 v17, v125, v2
	v_fma_f32 v2, v125, v3, -v16
	v_cvt_f64_f32_e32 v[11:12], v15
	v_cvt_f64_f32_e32 v[15:16], v20
	;; [unrolled: 1-line block ×4, first 2 shown]
	v_add_co_u32 v24, s0, v24, v0
	v_add_co_ci_u32_e64 v25, s0, v25, v1, s0
	ds_read2_b64 v[0:3], v4 offset0:14 offset1:59
	s_waitcnt lgkmcnt(1)
	v_mul_f32_e32 v17, v119, v6
	v_mul_f32_e32 v32, v113, v7
	v_cvt_f32_f64_e32 v26, v[9:10]
	v_mul_f32_e32 v9, v119, v5
	v_cvt_f32_f64_e32 v27, v[13:14]
	v_fmac_f32_e32 v17, v118, v5
	s_mul_i32 s0, s9, 45
	v_fma_f32 v30, v118, v6, -v9
	s_add_i32 s1, s1, s0
	s_mul_i32 s0, s8, 45
	s_lshl_b64 s[2:3], s[0:1], 3
	v_mul_f64 v[28:29], v[11:12], s[4:5]
	ds_read2_b64 v[9:12], v4 offset0:104 offset1:149
	v_mul_f64 v[5:6], v[20:21], s[4:5]
	v_mul_f64 v[20:21], v[22:23], s[4:5]
	v_cvt_f64_f32_e32 v[22:23], v17
	v_mul_f32_e32 v17, v113, v8
	s_waitcnt lgkmcnt(1)
	v_mul_f32_e32 v36, v115, v3
	v_mul_f32_e32 v33, v117, v1
	;; [unrolled: 1-line block ×3, first 2 shown]
	v_mul_f64 v[15:16], v[15:16], s[4:5]
	v_fmac_f32_e32 v17, v112, v7
	v_fma_f32 v7, v112, v8, -v32
	v_fmac_f32_e32 v36, v114, v2
	v_mul_f32_e32 v2, v115, v2
	v_cvt_f64_f32_e32 v[30:31], v30
	v_fmac_f32_e32 v33, v116, v0
	v_fma_f32 v34, v116, v1, -v34
	v_cvt_f64_f32_e32 v[0:1], v17
	v_cvt_f64_f32_e32 v[7:8], v7
	v_fma_f32 v2, v114, v3, -v2
	v_cvt_f64_f32_e32 v[32:33], v33
	s_waitcnt lgkmcnt(0)
	v_mul_f32_e32 v38, v122, v9
	v_mul_f32_e32 v17, v122, v10
	v_mul_f32_e32 v39, v124, v12
	v_mul_f32_e32 v40, v124, v11
	v_cvt_f64_f32_e32 v[34:35], v34
	v_fma_f32 v38, v121, v10, -v38
	v_fmac_f32_e32 v17, v121, v9
	v_fmac_f32_e32 v39, v123, v11
	v_fma_f32 v40, v123, v12, -v40
	v_cvt_f64_f32_e32 v[2:3], v2
	v_cvt_f64_f32_e32 v[11:12], v38
	;; [unrolled: 1-line block ×6, first 2 shown]
	v_add_co_u32 v13, s0, v24, s2
	v_add_co_ci_u32_e64 v14, s0, s3, v25, s0
	global_store_dwordx2 v[24:25], v[18:19], off
	global_store_dwordx2 v[13:14], v[26:27], off
	v_cvt_f32_f64_e32 v18, v[15:16]
	v_mul_f64 v[15:16], v[22:23], s[4:5]
	v_mul_f64 v[22:23], v[30:31], s[4:5]
	;; [unrolled: 1-line block ×4, first 2 shown]
	v_cvt_f32_f64_e32 v5, v[5:6]
	v_cvt_f32_f64_e32 v6, v[20:21]
	v_mul_f64 v[19:20], v[32:33], s[4:5]
	v_mul_f64 v[24:25], v[34:35], s[4:5]
	v_mul_f64 v[2:3], v[2:3], s[4:5]
	v_mul_f64 v[11:12], v[11:12], s[4:5]
	v_add_co_u32 v13, s0, v13, s2
	v_mul_f64 v[26:27], v[36:37], s[4:5]
	v_mul_f64 v[9:10], v[9:10], s[4:5]
	v_cvt_f32_f64_e32 v17, v[28:29]
	v_add_co_ci_u32_e64 v14, s0, s3, v14, s0
	v_mul_f64 v[28:29], v[38:39], s[4:5]
	v_mul_f64 v[30:31], v[40:41], s[4:5]
	v_add_co_u32 v32, s0, v13, s2
	v_add_co_ci_u32_e64 v33, s0, s3, v14, s0
	v_cvt_f32_f64_e32 v15, v[15:16]
	v_add_co_u32 v21, s0, v32, s2
	v_cvt_f32_f64_e32 v16, v[22:23]
	v_add_co_ci_u32_e64 v22, s0, s3, v33, s0
	v_cvt_f32_f64_e32 v35, v[7:8]
	v_add_co_u32 v7, s0, v21, s2
	v_add_co_ci_u32_e64 v8, s0, s3, v22, s0
	v_cvt_f32_f64_e32 v34, v[0:1]
	v_cvt_f32_f64_e32 v19, v[19:20]
	;; [unrolled: 1-line block ×5, first 2 shown]
	v_add_co_u32 v11, s0, v7, s2
	v_cvt_f32_f64_e32 v23, v[26:27]
	v_add_co_ci_u32_e64 v12, s0, s3, v8, s0
	v_cvt_f32_f64_e32 v2, v[9:10]
	v_cvt_f32_f64_e32 v9, v[28:29]
	;; [unrolled: 1-line block ×3, first 2 shown]
	global_store_dwordx2 v[13:14], v[17:18], off
	v_add_co_u32 v13, s0, v11, s2
	v_add_co_ci_u32_e64 v14, s0, s3, v12, s0
	global_store_dwordx2 v[32:33], v[5:6], off
	v_add_co_u32 v5, s0, v13, s2
	v_add_co_ci_u32_e64 v6, s0, s3, v14, s0
	;; [unrolled: 3-line block ×3, first 2 shown]
	global_store_dwordx2 v[7:8], v[34:35], off
	global_store_dwordx2 v[11:12], v[19:20], off
	;; [unrolled: 1-line block ×5, first 2 shown]
	s_and_b32 exec_lo, exec_lo, vcc_lo
	s_cbranch_execz .LBB0_15
; %bb.14:
	global_load_dwordx2 v[2:3], v[110:111], off offset:240
	ds_read2_b64 v[5:8], v136 offset0:30 offset1:120
	s_mul_i32 s0, s9, 0xfffff448
	s_sub_i32 s0, s0, s8
	s_waitcnt vmcnt(0) lgkmcnt(0)
	v_mul_f32_e32 v9, v6, v3
	v_mul_f32_e32 v3, v5, v3
	v_fmac_f32_e32 v9, v5, v2
	v_fma_f32 v5, v2, v6, -v3
	v_cvt_f64_f32_e32 v[2:3], v9
	v_cvt_f64_f32_e32 v[5:6], v5
	v_mul_f64 v[2:3], v[2:3], s[4:5]
	v_mul_f64 v[5:6], v[5:6], s[4:5]
	v_cvt_f32_f64_e32 v2, v[2:3]
	v_cvt_f32_f64_e32 v3, v[5:6]
	v_mad_u64_u32 v[5:6], null, 0xfffff448, s8, v[0:1]
	v_add_nc_u32_e32 v6, s0, v6
	global_store_dwordx2 v[5:6], v[2:3], off
	global_load_dwordx2 v[9:10], v[110:111], off offset:600
	ds_read2_b64 v[0:3], v133 offset0:75 offset1:165
	v_add_co_u32 v5, vcc_lo, v5, s2
	v_add_co_ci_u32_e32 v6, vcc_lo, s3, v6, vcc_lo
	s_waitcnt vmcnt(0) lgkmcnt(0)
	v_mul_f32_e32 v11, v1, v10
	v_mul_f32_e32 v10, v0, v10
	v_fmac_f32_e32 v11, v0, v9
	v_fma_f32 v9, v9, v1, -v10
	v_cvt_f64_f32_e32 v[0:1], v11
	v_cvt_f64_f32_e32 v[9:10], v9
	v_mul_f64 v[0:1], v[0:1], s[4:5]
	v_mul_f64 v[9:10], v[9:10], s[4:5]
	v_cvt_f32_f64_e32 v0, v[0:1]
	v_cvt_f32_f64_e32 v1, v[9:10]
	global_store_dwordx2 v[5:6], v[0:1], off
	global_load_dwordx2 v[0:1], v[110:111], off offset:960
	v_add_co_u32 v5, vcc_lo, v5, s2
	v_add_co_ci_u32_e32 v6, vcc_lo, s3, v6, vcc_lo
	s_waitcnt vmcnt(0)
	v_mul_f32_e32 v9, v8, v1
	v_mul_f32_e32 v1, v7, v1
	v_fmac_f32_e32 v9, v7, v0
	v_fma_f32 v7, v0, v8, -v1
	v_cvt_f64_f32_e32 v[0:1], v9
	v_cvt_f64_f32_e32 v[7:8], v7
	v_mul_f64 v[0:1], v[0:1], s[4:5]
	v_mul_f64 v[7:8], v[7:8], s[4:5]
	v_cvt_f32_f64_e32 v0, v[0:1]
	v_cvt_f32_f64_e32 v1, v[7:8]
	global_store_dwordx2 v[5:6], v[0:1], off
	global_load_dwordx2 v[0:1], v[110:111], off offset:1320
	v_add_co_u32 v5, vcc_lo, v5, s2
	v_add_co_ci_u32_e32 v6, vcc_lo, s3, v6, vcc_lo
	s_waitcnt vmcnt(0)
	v_mul_f32_e32 v7, v3, v1
	v_mul_f32_e32 v1, v2, v1
	v_fmac_f32_e32 v7, v2, v0
	v_fma_f32 v2, v0, v3, -v1
	v_cvt_f64_f32_e32 v[0:1], v7
	v_cvt_f64_f32_e32 v[2:3], v2
	v_mul_f64 v[0:1], v[0:1], s[4:5]
	v_mul_f64 v[2:3], v[2:3], s[4:5]
	v_cvt_f32_f64_e32 v0, v[0:1]
	v_cvt_f32_f64_e32 v1, v[2:3]
	global_store_dwordx2 v[5:6], v[0:1], off
	global_load_dwordx2 v[7:8], v[110:111], off offset:1680
	ds_read2_b64 v[0:3], v133 offset0:210 offset1:255
	v_add_co_u32 v5, vcc_lo, v5, s2
	v_add_co_ci_u32_e32 v6, vcc_lo, s3, v6, vcc_lo
	s_waitcnt vmcnt(0) lgkmcnt(0)
	v_mul_f32_e32 v9, v1, v8
	v_mul_f32_e32 v8, v0, v8
	v_fmac_f32_e32 v9, v0, v7
	v_fma_f32 v7, v7, v1, -v8
	v_cvt_f64_f32_e32 v[0:1], v9
	v_cvt_f64_f32_e32 v[7:8], v7
	v_mul_f64 v[0:1], v[0:1], s[4:5]
	v_mul_f64 v[7:8], v[7:8], s[4:5]
	v_cvt_f32_f64_e32 v0, v[0:1]
	v_cvt_f32_f64_e32 v1, v[7:8]
	global_store_dwordx2 v[5:6], v[0:1], off
	global_load_dwordx2 v[0:1], v[110:111], off offset:2040
	v_add_co_u32 v5, vcc_lo, v5, s2
	v_add_co_ci_u32_e32 v6, vcc_lo, s3, v6, vcc_lo
	s_waitcnt vmcnt(0)
	v_mul_f32_e32 v7, v3, v1
	v_mul_f32_e32 v1, v2, v1
	v_fmac_f32_e32 v7, v2, v0
	v_fma_f32 v2, v0, v3, -v1
	v_cvt_f64_f32_e32 v[0:1], v7
	v_cvt_f64_f32_e32 v[2:3], v2
	v_mul_f64 v[0:1], v[0:1], s[4:5]
	v_mul_f64 v[2:3], v[2:3], s[4:5]
	v_cvt_f32_f64_e32 v0, v[0:1]
	v_cvt_f32_f64_e32 v1, v[2:3]
	global_store_dwordx2 v[5:6], v[0:1], off
	global_load_dwordx2 v[7:8], v[108:109], off offset:352
	ds_read2_b64 v[0:3], v4 offset0:44 offset1:89
	v_add_co_u32 v5, vcc_lo, v5, s2
	v_add_co_ci_u32_e32 v6, vcc_lo, s3, v6, vcc_lo
	s_waitcnt vmcnt(0) lgkmcnt(0)
	v_mul_f32_e32 v9, v1, v8
	v_mul_f32_e32 v8, v0, v8
	v_fmac_f32_e32 v9, v0, v7
	v_fma_f32 v7, v7, v1, -v8
	v_cvt_f64_f32_e32 v[0:1], v9
	v_cvt_f64_f32_e32 v[7:8], v7
	v_mul_f64 v[0:1], v[0:1], s[4:5]
	v_mul_f64 v[7:8], v[7:8], s[4:5]
	v_cvt_f32_f64_e32 v0, v[0:1]
	v_cvt_f32_f64_e32 v1, v[7:8]
	global_store_dwordx2 v[5:6], v[0:1], off
	global_load_dwordx2 v[0:1], v[108:109], off offset:712
	v_add_co_u32 v5, vcc_lo, v5, s2
	v_add_co_ci_u32_e32 v6, vcc_lo, s3, v6, vcc_lo
	s_waitcnt vmcnt(0)
	v_mul_f32_e32 v7, v3, v1
	v_mul_f32_e32 v1, v2, v1
	v_fmac_f32_e32 v7, v2, v0
	v_fma_f32 v2, v0, v3, -v1
	v_cvt_f64_f32_e32 v[0:1], v7
	v_cvt_f64_f32_e32 v[2:3], v2
	v_mul_f64 v[0:1], v[0:1], s[4:5]
	v_mul_f64 v[2:3], v[2:3], s[4:5]
	v_cvt_f32_f64_e32 v0, v[0:1]
	v_cvt_f32_f64_e32 v1, v[2:3]
	global_store_dwordx2 v[5:6], v[0:1], off
	global_load_dwordx2 v[7:8], v[108:109], off offset:1072
	ds_read2_b64 v[0:3], v4 offset0:134 offset1:179
	s_waitcnt vmcnt(0) lgkmcnt(0)
	v_mul_f32_e32 v4, v1, v8
	v_mul_f32_e32 v8, v0, v8
	v_fmac_f32_e32 v4, v0, v7
	v_fma_f32 v7, v7, v1, -v8
	v_cvt_f64_f32_e32 v[0:1], v4
	v_cvt_f64_f32_e32 v[7:8], v7
	v_add_co_u32 v4, vcc_lo, v5, s2
	v_add_co_ci_u32_e32 v5, vcc_lo, s3, v6, vcc_lo
	v_mul_f64 v[0:1], v[0:1], s[4:5]
	v_mul_f64 v[7:8], v[7:8], s[4:5]
	v_cvt_f32_f64_e32 v0, v[0:1]
	v_cvt_f32_f64_e32 v1, v[7:8]
	global_store_dwordx2 v[4:5], v[0:1], off
	global_load_dwordx2 v[0:1], v[108:109], off offset:1432
	s_waitcnt vmcnt(0)
	v_mul_f32_e32 v6, v3, v1
	v_mul_f32_e32 v1, v2, v1
	v_fmac_f32_e32 v6, v2, v0
	v_fma_f32 v2, v0, v3, -v1
	v_cvt_f64_f32_e32 v[0:1], v6
	v_cvt_f64_f32_e32 v[2:3], v2
	v_mul_f64 v[0:1], v[0:1], s[4:5]
	v_mul_f64 v[2:3], v[2:3], s[4:5]
	v_cvt_f32_f64_e32 v0, v[0:1]
	v_cvt_f32_f64_e32 v1, v[2:3]
	v_add_co_u32 v2, vcc_lo, v4, s2
	v_add_co_ci_u32_e32 v3, vcc_lo, s3, v5, vcc_lo
	global_store_dwordx2 v[2:3], v[0:1], off
.LBB0_15:
	s_endpgm
	.section	.rodata,"a",@progbits
	.p2align	6, 0x0
	.amdhsa_kernel bluestein_single_back_len450_dim1_sp_op_CI_CI
		.amdhsa_group_segment_fixed_size 14400
		.amdhsa_private_segment_fixed_size 0
		.amdhsa_kernarg_size 104
		.amdhsa_user_sgpr_count 6
		.amdhsa_user_sgpr_private_segment_buffer 1
		.amdhsa_user_sgpr_dispatch_ptr 0
		.amdhsa_user_sgpr_queue_ptr 0
		.amdhsa_user_sgpr_kernarg_segment_ptr 1
		.amdhsa_user_sgpr_dispatch_id 0
		.amdhsa_user_sgpr_flat_scratch_init 0
		.amdhsa_user_sgpr_private_segment_size 0
		.amdhsa_wavefront_size32 1
		.amdhsa_uses_dynamic_stack 0
		.amdhsa_system_sgpr_private_segment_wavefront_offset 0
		.amdhsa_system_sgpr_workgroup_id_x 1
		.amdhsa_system_sgpr_workgroup_id_y 0
		.amdhsa_system_sgpr_workgroup_id_z 0
		.amdhsa_system_sgpr_workgroup_info 0
		.amdhsa_system_vgpr_workitem_id 0
		.amdhsa_next_free_vgpr 178
		.amdhsa_next_free_sgpr 16
		.amdhsa_reserve_vcc 1
		.amdhsa_reserve_flat_scratch 0
		.amdhsa_float_round_mode_32 0
		.amdhsa_float_round_mode_16_64 0
		.amdhsa_float_denorm_mode_32 3
		.amdhsa_float_denorm_mode_16_64 3
		.amdhsa_dx10_clamp 1
		.amdhsa_ieee_mode 1
		.amdhsa_fp16_overflow 0
		.amdhsa_workgroup_processor_mode 1
		.amdhsa_memory_ordered 1
		.amdhsa_forward_progress 0
		.amdhsa_shared_vgpr_count 0
		.amdhsa_exception_fp_ieee_invalid_op 0
		.amdhsa_exception_fp_denorm_src 0
		.amdhsa_exception_fp_ieee_div_zero 0
		.amdhsa_exception_fp_ieee_overflow 0
		.amdhsa_exception_fp_ieee_underflow 0
		.amdhsa_exception_fp_ieee_inexact 0
		.amdhsa_exception_int_div_zero 0
	.end_amdhsa_kernel
	.text
.Lfunc_end0:
	.size	bluestein_single_back_len450_dim1_sp_op_CI_CI, .Lfunc_end0-bluestein_single_back_len450_dim1_sp_op_CI_CI
                                        ; -- End function
	.section	.AMDGPU.csdata,"",@progbits
; Kernel info:
; codeLenInByte = 15032
; NumSgprs: 18
; NumVgprs: 178
; ScratchSize: 0
; MemoryBound: 0
; FloatMode: 240
; IeeeMode: 1
; LDSByteSize: 14400 bytes/workgroup (compile time only)
; SGPRBlocks: 2
; VGPRBlocks: 22
; NumSGPRsForWavesPerEU: 18
; NumVGPRsForWavesPerEU: 178
; Occupancy: 5
; WaveLimiterHint : 1
; COMPUTE_PGM_RSRC2:SCRATCH_EN: 0
; COMPUTE_PGM_RSRC2:USER_SGPR: 6
; COMPUTE_PGM_RSRC2:TRAP_HANDLER: 0
; COMPUTE_PGM_RSRC2:TGID_X_EN: 1
; COMPUTE_PGM_RSRC2:TGID_Y_EN: 0
; COMPUTE_PGM_RSRC2:TGID_Z_EN: 0
; COMPUTE_PGM_RSRC2:TIDIG_COMP_CNT: 0
	.text
	.p2alignl 6, 3214868480
	.fill 48, 4, 3214868480
	.type	__hip_cuid_af801b23d27b1050,@object ; @__hip_cuid_af801b23d27b1050
	.section	.bss,"aw",@nobits
	.globl	__hip_cuid_af801b23d27b1050
__hip_cuid_af801b23d27b1050:
	.byte	0                               ; 0x0
	.size	__hip_cuid_af801b23d27b1050, 1

	.ident	"AMD clang version 19.0.0git (https://github.com/RadeonOpenCompute/llvm-project roc-6.4.0 25133 c7fe45cf4b819c5991fe208aaa96edf142730f1d)"
	.section	".note.GNU-stack","",@progbits
	.addrsig
	.addrsig_sym __hip_cuid_af801b23d27b1050
	.amdgpu_metadata
---
amdhsa.kernels:
  - .args:
      - .actual_access:  read_only
        .address_space:  global
        .offset:         0
        .size:           8
        .value_kind:     global_buffer
      - .actual_access:  read_only
        .address_space:  global
        .offset:         8
        .size:           8
        .value_kind:     global_buffer
      - .actual_access:  read_only
        .address_space:  global
        .offset:         16
        .size:           8
        .value_kind:     global_buffer
      - .actual_access:  read_only
        .address_space:  global
        .offset:         24
        .size:           8
        .value_kind:     global_buffer
      - .actual_access:  read_only
        .address_space:  global
        .offset:         32
        .size:           8
        .value_kind:     global_buffer
      - .offset:         40
        .size:           8
        .value_kind:     by_value
      - .address_space:  global
        .offset:         48
        .size:           8
        .value_kind:     global_buffer
      - .address_space:  global
        .offset:         56
        .size:           8
        .value_kind:     global_buffer
      - .address_space:  global
        .offset:         64
        .size:           8
        .value_kind:     global_buffer
      - .address_space:  global
        .offset:         72
        .size:           8
        .value_kind:     global_buffer
      - .offset:         80
        .size:           4
        .value_kind:     by_value
      - .address_space:  global
        .offset:         88
        .size:           8
        .value_kind:     global_buffer
      - .address_space:  global
        .offset:         96
        .size:           8
        .value_kind:     global_buffer
    .group_segment_fixed_size: 14400
    .kernarg_segment_align: 8
    .kernarg_segment_size: 104
    .language:       OpenCL C
    .language_version:
      - 2
      - 0
    .max_flat_workgroup_size: 120
    .name:           bluestein_single_back_len450_dim1_sp_op_CI_CI
    .private_segment_fixed_size: 0
    .sgpr_count:     18
    .sgpr_spill_count: 0
    .symbol:         bluestein_single_back_len450_dim1_sp_op_CI_CI.kd
    .uniform_work_group_size: 1
    .uses_dynamic_stack: false
    .vgpr_count:     178
    .vgpr_spill_count: 0
    .wavefront_size: 32
    .workgroup_processor_mode: 1
amdhsa.target:   amdgcn-amd-amdhsa--gfx1030
amdhsa.version:
  - 1
  - 2
...

	.end_amdgpu_metadata
